;; amdgpu-corpus repo=ROCm/rocFFT kind=compiled arch=gfx906 opt=O3
	.text
	.amdgcn_target "amdgcn-amd-amdhsa--gfx906"
	.amdhsa_code_object_version 6
	.protected	bluestein_single_fwd_len1989_dim1_sp_op_CI_CI ; -- Begin function bluestein_single_fwd_len1989_dim1_sp_op_CI_CI
	.globl	bluestein_single_fwd_len1989_dim1_sp_op_CI_CI
	.p2align	8
	.type	bluestein_single_fwd_len1989_dim1_sp_op_CI_CI,@function
bluestein_single_fwd_len1989_dim1_sp_op_CI_CI: ; @bluestein_single_fwd_len1989_dim1_sp_op_CI_CI
; %bb.0:
	s_mov_b64 s[26:27], s[2:3]
	s_mov_b64 s[24:25], s[0:1]
	s_load_dwordx4 s[0:3], s[4:5], 0x28
	v_mul_u32_u24_e32 v1, 0x1ad, v0
	v_add_u32_sdwa v196, s6, v1 dst_sel:DWORD dst_unused:UNUSED_PAD src0_sel:DWORD src1_sel:WORD_1
	v_mov_b32_e32 v197, 0
	s_add_u32 s24, s24, s7
	s_waitcnt lgkmcnt(0)
	v_cmp_gt_u64_e32 vcc, s[0:1], v[196:197]
	s_addc_u32 s25, s25, 0
	s_and_saveexec_b64 s[0:1], vcc
	s_cbranch_execz .LBB0_23
; %bb.1:
	s_load_dwordx2 s[8:9], s[4:5], 0x0
	s_load_dwordx2 s[10:11], s[4:5], 0x38
	s_movk_i32 s0, 0x99
	v_mul_lo_u16_sdwa v1, v1, s0 dst_sel:DWORD dst_unused:UNUSED_PAD src0_sel:WORD_1 src1_sel:DWORD
	v_sub_u16_e32 v197, v0, v1
	s_movk_i32 s0, 0x75
	v_cmp_gt_u16_e64 s[0:1], s0, v197
	v_lshlrev_b32_e32 v105, 3, v197
	s_and_saveexec_b64 s[6:7], s[0:1]
	s_cbranch_execz .LBB0_3
; %bb.2:
	s_load_dwordx2 s[12:13], s[4:5], 0x18
	s_waitcnt lgkmcnt(0)
	s_load_dwordx4 s[12:15], s[12:13], 0x0
	s_waitcnt lgkmcnt(0)
	v_mad_u64_u32 v[0:1], s[16:17], s14, v196, 0
	v_mad_u64_u32 v[2:3], s[16:17], s12, v197, 0
	;; [unrolled: 1-line block ×4, first 2 shown]
	v_mov_b32_e32 v1, v4
	v_lshlrev_b64 v[0:1], 3, v[0:1]
	v_mov_b32_e32 v3, v5
	v_mov_b32_e32 v6, s3
	v_lshlrev_b64 v[2:3], 3, v[2:3]
	v_add_co_u32_e32 v0, vcc, s2, v0
	v_addc_co_u32_e32 v1, vcc, v6, v1, vcc
	v_add_co_u32_e32 v0, vcc, v0, v2
	v_addc_co_u32_e32 v1, vcc, v1, v3, vcc
	v_mov_b32_e32 v2, s9
	v_add_co_u32_e32 v60, vcc, s8, v105
	s_mul_i32 s2, s13, 0x3a8
	s_mul_hi_u32 s3, s12, 0x3a8
	v_addc_co_u32_e32 v61, vcc, 0, v2, vcc
	s_add_i32 s2, s3, s2
	s_mul_i32 s3, s12, 0x3a8
	v_mov_b32_e32 v3, s2
	v_add_co_u32_e32 v2, vcc, s3, v0
	v_addc_co_u32_e32 v3, vcc, v1, v3, vcc
	v_mov_b32_e32 v5, s2
	v_add_co_u32_e32 v4, vcc, s3, v2
	v_addc_co_u32_e32 v5, vcc, v3, v5, vcc
	;; [unrolled: 3-line block ×3, first 2 shown]
	global_load_dwordx2 v[8:9], v[0:1], off
	global_load_dwordx2 v[10:11], v[2:3], off
	;; [unrolled: 1-line block ×4, first 2 shown]
	global_load_dwordx2 v[16:17], v105, s[8:9]
	global_load_dwordx2 v[18:19], v105, s[8:9] offset:936
	global_load_dwordx2 v[20:21], v105, s[8:9] offset:1872
	;; [unrolled: 1-line block ×3, first 2 shown]
	v_mov_b32_e32 v1, s2
	v_add_co_u32_e32 v0, vcc, s3, v6
	v_addc_co_u32_e32 v1, vcc, v7, v1, vcc
	global_load_dwordx2 v[2:3], v[0:1], off
	global_load_dwordx2 v[4:5], v105, s[8:9] offset:3744
	v_mov_b32_e32 v6, s2
	v_add_co_u32_e32 v0, vcc, s3, v0
	v_addc_co_u32_e32 v1, vcc, v1, v6, vcc
	s_movk_i32 s12, 0x1000
	v_add_co_u32_e32 v24, vcc, s12, v60
	v_addc_co_u32_e32 v25, vcc, 0, v61, vcc
	global_load_dwordx2 v[6:7], v[0:1], off
	v_mov_b32_e32 v26, s2
	v_add_co_u32_e32 v0, vcc, s3, v0
	v_addc_co_u32_e32 v1, vcc, v1, v26, vcc
	global_load_dwordx2 v[26:27], v[0:1], off
	v_mov_b32_e32 v28, s2
	;; [unrolled: 4-line block ×3, first 2 shown]
	v_add_co_u32_e32 v0, vcc, s3, v0
	v_addc_co_u32_e32 v1, vcc, v1, v30, vcc
	global_load_dwordx2 v[30:31], v[0:1], off
	global_load_dwordx2 v[32:33], v[24:25], off offset:584
	global_load_dwordx2 v[34:35], v[24:25], off offset:1520
	;; [unrolled: 1-line block ×4, first 2 shown]
	v_mov_b32_e32 v24, s2
	v_add_co_u32_e32 v0, vcc, s3, v0
	v_addc_co_u32_e32 v1, vcc, v1, v24, vcc
	s_movk_i32 s12, 0x2000
	v_add_co_u32_e32 v40, vcc, s12, v60
	v_addc_co_u32_e32 v41, vcc, 0, v61, vcc
	global_load_dwordx2 v[24:25], v[0:1], off
	v_mov_b32_e32 v42, s2
	v_add_co_u32_e32 v0, vcc, s3, v0
	v_addc_co_u32_e32 v1, vcc, v1, v42, vcc
	global_load_dwordx2 v[42:43], v[0:1], off
	v_mov_b32_e32 v44, s2
	;; [unrolled: 4-line block ×3, first 2 shown]
	v_add_co_u32_e32 v0, vcc, s3, v0
	v_addc_co_u32_e32 v1, vcc, v1, v46, vcc
	global_load_dwordx2 v[46:47], v[0:1], off
	global_load_dwordx2 v[48:49], v[40:41], off offset:232
	global_load_dwordx2 v[50:51], v[40:41], off offset:1168
	;; [unrolled: 1-line block ×4, first 2 shown]
	v_mov_b32_e32 v56, s2
	v_add_co_u32_e32 v0, vcc, s3, v0
	v_addc_co_u32_e32 v1, vcc, v1, v56, vcc
	global_load_dwordx2 v[56:57], v[0:1], off
	global_load_dwordx2 v[58:59], v[40:41], off offset:3976
	v_mov_b32_e32 v40, s2
	v_add_co_u32_e32 v0, vcc, s3, v0
	v_addc_co_u32_e32 v1, vcc, v1, v40, vcc
	s_movk_i32 s12, 0x3000
	v_add_co_u32_e32 v60, vcc, s12, v60
	v_addc_co_u32_e32 v61, vcc, 0, v61, vcc
	global_load_dwordx2 v[40:41], v[0:1], off
	v_mov_b32_e32 v64, s2
	v_add_co_u32_e32 v0, vcc, s3, v0
	v_addc_co_u32_e32 v1, vcc, v1, v64, vcc
	global_load_dwordx2 v[62:63], v[60:61], off offset:816
	global_load_dwordx2 v[64:65], v[0:1], off
	global_load_dwordx2 v[66:67], v[60:61], off offset:1752
	v_mov_b32_e32 v68, s2
	v_add_co_u32_e32 v0, vcc, s3, v0
	v_addc_co_u32_e32 v1, vcc, v1, v68, vcc
	global_load_dwordx2 v[68:69], v[0:1], off
	global_load_dwordx2 v[70:71], v[60:61], off offset:2688
	s_waitcnt vmcnt(29)
	v_mul_f32_e32 v0, v9, v17
	v_mul_f32_e32 v1, v8, v17
	v_fmac_f32_e32 v0, v8, v16
	v_fma_f32 v1, v9, v16, -v1
	s_waitcnt vmcnt(28)
	v_mul_f32_e32 v8, v11, v19
	v_mul_f32_e32 v9, v10, v19
	v_fmac_f32_e32 v8, v10, v18
	v_fma_f32 v9, v11, v18, -v9
	ds_write2_b64 v105, v[0:1], v[8:9] offset1:117
	s_waitcnt vmcnt(27)
	v_mul_f32_e32 v0, v13, v21
	v_mul_f32_e32 v1, v12, v21
	s_waitcnt vmcnt(26)
	v_mul_f32_e32 v8, v15, v23
	v_mul_f32_e32 v9, v14, v23
	v_fmac_f32_e32 v0, v12, v20
	v_fma_f32 v1, v13, v20, -v1
	v_fmac_f32_e32 v8, v14, v22
	v_fma_f32 v9, v15, v22, -v9
	v_add_u32_e32 v10, 0x400, v105
	ds_write2_b64 v10, v[0:1], v[8:9] offset0:106 offset1:223
	s_waitcnt vmcnt(24)
	v_mul_f32_e32 v0, v3, v5
	v_mul_f32_e32 v1, v2, v5
	v_fmac_f32_e32 v0, v2, v4
	v_fma_f32 v1, v3, v4, -v1
	s_waitcnt vmcnt(19)
	v_mul_f32_e32 v2, v7, v33
	v_mul_f32_e32 v3, v6, v33
	v_fmac_f32_e32 v2, v6, v32
	v_fma_f32 v3, v7, v32, -v3
	v_add_u32_e32 v4, 0xc00, v105
	ds_write2_b64 v4, v[0:1], v[2:3] offset0:84 offset1:201
	s_waitcnt vmcnt(18)
	v_mul_f32_e32 v0, v27, v35
	v_mul_f32_e32 v1, v26, v35
	s_waitcnt vmcnt(17)
	v_mul_f32_e32 v2, v29, v37
	v_mul_f32_e32 v3, v28, v37
	v_fmac_f32_e32 v0, v26, v34
	v_fma_f32 v1, v27, v34, -v1
	v_fmac_f32_e32 v2, v28, v36
	v_fma_f32 v3, v29, v36, -v3
	v_add_u32_e32 v4, 0x1400, v105
	ds_write2_b64 v4, v[0:1], v[2:3] offset0:62 offset1:179
	s_waitcnt vmcnt(16)
	v_mul_f32_e32 v0, v31, v39
	v_mul_f32_e32 v1, v30, v39
	v_fmac_f32_e32 v0, v30, v38
	v_fma_f32 v1, v31, v38, -v1
	v_add_u32_e32 v4, 0x1c00, v105
	s_waitcnt vmcnt(11)
	v_mul_f32_e32 v2, v25, v49
	v_mul_f32_e32 v3, v24, v49
	v_fmac_f32_e32 v2, v24, v48
	v_fma_f32 v3, v25, v48, -v3
	ds_write2_b64 v4, v[0:1], v[2:3] offset0:40 offset1:157
	s_waitcnt vmcnt(10)
	v_mul_f32_e32 v0, v43, v51
	v_mul_f32_e32 v1, v42, v51
	s_waitcnt vmcnt(9)
	v_mul_f32_e32 v2, v45, v53
	v_mul_f32_e32 v3, v44, v53
	v_fmac_f32_e32 v0, v42, v50
	v_fma_f32 v1, v43, v50, -v1
	v_fmac_f32_e32 v2, v44, v52
	v_fma_f32 v3, v45, v52, -v3
	v_add_u32_e32 v4, 0x2400, v105
	ds_write2_b64 v4, v[0:1], v[2:3] offset0:18 offset1:135
	s_waitcnt vmcnt(8)
	v_mul_f32_e32 v0, v47, v55
	v_mul_f32_e32 v1, v46, v55
	s_waitcnt vmcnt(6)
	v_mul_f32_e32 v2, v57, v59
	v_mul_f32_e32 v3, v56, v59
	v_fmac_f32_e32 v0, v46, v54
	v_fma_f32 v1, v47, v54, -v1
	v_fmac_f32_e32 v2, v56, v58
	v_fma_f32 v3, v57, v58, -v3
	v_add_u32_e32 v4, 0x2800, v105
	ds_write2_b64 v4, v[0:1], v[2:3] offset0:124 offset1:241
	v_add_u32_e32 v4, 0x3000, v105
	s_waitcnt vmcnt(4)
	v_mul_f32_e32 v0, v41, v63
	v_mul_f32_e32 v1, v40, v63
	s_waitcnt vmcnt(2)
	v_mul_f32_e32 v2, v65, v67
	v_mul_f32_e32 v3, v64, v67
	v_fmac_f32_e32 v0, v40, v62
	v_fma_f32 v1, v41, v62, -v1
	v_fmac_f32_e32 v2, v64, v66
	v_fma_f32 v3, v65, v66, -v3
	ds_write2_b64 v4, v[0:1], v[2:3] offset0:102 offset1:219
	s_waitcnt vmcnt(0)
	v_mul_f32_e32 v0, v69, v71
	v_mul_f32_e32 v1, v68, v71
	v_fmac_f32_e32 v0, v68, v70
	v_fma_f32 v1, v69, v70, -v1
	ds_write_b64 v105, v[0:1] offset:14976
.LBB0_3:
	s_or_b64 exec, exec, s[6:7]
	s_load_dwordx2 s[2:3], s[4:5], 0x20
	s_load_dwordx2 s[12:13], s[4:5], 0x8
	v_mov_b32_e32 v0, 0
	v_mov_b32_e32 v1, 0
	s_waitcnt lgkmcnt(0)
	s_barrier
	s_waitcnt lgkmcnt(0)
                                        ; implicit-def: $vgpr28
                                        ; implicit-def: $vgpr32
                                        ; implicit-def: $vgpr26
                                        ; implicit-def: $vgpr22
                                        ; implicit-def: $vgpr18
                                        ; implicit-def: $vgpr14
                                        ; implicit-def: $vgpr10
                                        ; implicit-def: $vgpr6
	s_and_saveexec_b64 s[4:5], s[0:1]
	s_cbranch_execz .LBB0_5
; %bb.4:
	v_add_u32_e32 v4, 0x400, v105
	v_add_u32_e32 v8, 0xc00, v105
	v_add_u32_e32 v12, 0x1400, v105
	v_add_u32_e32 v16, 0x1c00, v105
	v_add_u32_e32 v20, 0x2400, v105
	v_add_u32_e32 v24, 0x2800, v105
	v_add_u32_e32 v28, 0x3000, v105
	ds_read2_b64 v[0:3], v105 offset1:117
	ds_read2_b64 v[4:7], v4 offset0:106 offset1:223
	ds_read2_b64 v[8:11], v8 offset0:84 offset1:201
	ds_read2_b64 v[12:15], v12 offset0:62 offset1:179
	ds_read2_b64 v[16:19], v16 offset0:40 offset1:157
	ds_read2_b64 v[20:23], v20 offset0:18 offset1:135
	ds_read2_b64 v[24:27], v24 offset0:124 offset1:241
	ds_read2_b64 v[28:31], v28 offset0:102 offset1:219
	ds_read_b64 v[32:33], v105 offset:14976
.LBB0_5:
	s_or_b64 exec, exec, s[4:5]
	s_waitcnt lgkmcnt(0)
	v_sub_f32_e32 v88, v3, v33
	v_mul_f32_e32 v38, 0xbeb8f4ab, v88
	v_sub_f32_e32 v96, v5, v31
	v_add_f32_e32 v46, v32, v2
	v_sub_f32_e32 v49, v2, v32
	v_mov_b32_e32 v34, v38
	v_mul_f32_e32 v40, 0xbf2c7751, v96
	v_add_f32_e32 v95, v33, v3
	s_mov_b32 s6, 0x3f6eb680
	v_mul_f32_e32 v39, 0xbeb8f4ab, v49
	v_fmac_f32_e32 v34, 0x3f6eb680, v46
	v_add_f32_e32 v50, v30, v4
	v_sub_f32_e32 v53, v4, v30
	v_mov_b32_e32 v36, v40
	v_add_f32_e32 v34, v34, v0
	v_fma_f32 v35, v95, s6, -v39
	s_mov_b32 s7, 0x3f3d2fb0
	v_add_f32_e32 v102, v31, v5
	v_mul_f32_e32 v41, 0xbf2c7751, v53
	v_fmac_f32_e32 v36, 0x3f3d2fb0, v50
	v_sub_f32_e32 v103, v7, v29
	v_add_f32_e32 v35, v35, v1
	v_add_f32_e32 v34, v36, v34
	v_fma_f32 v36, v102, s7, -v41
	v_mul_f32_e32 v42, 0xbf65296c, v103
	v_add_f32_e32 v35, v36, v35
	v_add_f32_e32 v55, v28, v6
	v_sub_f32_e32 v59, v6, v28
	v_mov_b32_e32 v36, v42
	s_mov_b32 s14, 0x3ee437d1
	v_add_f32_e32 v117, v29, v7
	v_mul_f32_e32 v43, 0xbf65296c, v59
	v_fmac_f32_e32 v36, 0x3ee437d1, v55
	v_sub_f32_e32 v115, v9, v27
	v_add_f32_e32 v34, v36, v34
	v_fma_f32 v36, v117, s14, -v43
	v_mul_f32_e32 v44, 0xbf7ee86f, v115
	v_add_f32_e32 v35, v36, v35
	v_add_f32_e32 v61, v26, v8
	v_sub_f32_e32 v63, v8, v26
	v_mov_b32_e32 v36, v44
	s_mov_b32 s15, 0x3dbcf732
	v_add_f32_e32 v124, v27, v9
	v_mul_f32_e32 v45, 0xbf7ee86f, v63
	v_fmac_f32_e32 v36, 0x3dbcf732, v61
	v_sub_f32_e32 v123, v11, v25
	;; [unrolled: 12-line block ×5, first 2 shown]
	v_add_f32_e32 v34, v36, v34
	v_fma_f32 v36, v144, s19, -v58
	v_mul_f32_e32 v60, 0xbe3c28d5, v178
	v_add_f32_e32 v35, v36, v35
	v_add_f32_e32 v94, v18, v16
	v_mov_b32_e32 v36, v60
	v_sub_f32_e32 v99, v16, v18
	s_mov_b32 s17, 0xbf7ba420
	v_fmac_f32_e32 v36, 0xbf7ba420, v94
	v_add_f32_e32 v152, v19, v17
	v_mul_f32_e32 v62, 0xbe3c28d5, v99
	v_mul_f32_e32 v66, 0xbf2c7751, v88
	v_fma_f32 v37, v152, s17, -v62
	v_add_f32_e32 v56, v36, v34
	v_mov_b32_e32 v34, v66
	v_mul_f32_e32 v67, 0xbf7ee86f, v96
	v_add_f32_e32 v57, v37, v35
	v_fmac_f32_e32 v34, 0x3f3d2fb0, v46
	v_mov_b32_e32 v35, v67
	v_add_f32_e32 v34, v34, v0
	v_fmac_f32_e32 v35, 0x3dbcf732, v50
	v_mul_f32_e32 v72, 0xbf2c7751, v49
	v_add_f32_e32 v34, v35, v34
	v_fma_f32 v35, v95, s7, -v72
	v_mul_f32_e32 v73, 0xbf7ee86f, v53
	v_add_f32_e32 v35, v35, v1
	v_fma_f32 v36, v102, s15, -v73
	v_mul_f32_e32 v69, 0xbf4c4adb, v103
	v_add_f32_e32 v35, v36, v35
	v_mov_b32_e32 v36, v69
	v_fmac_f32_e32 v36, 0xbf1a4643, v55
	v_mul_f32_e32 v76, 0xbf4c4adb, v59
	v_add_f32_e32 v34, v36, v34
	v_fma_f32 v36, v117, s16, -v76
	v_mul_f32_e32 v70, 0xbe3c28d5, v115
	v_add_f32_e32 v35, v36, v35
	v_mov_b32_e32 v36, v70
	v_fmac_f32_e32 v36, 0xbf7ba420, v61
	v_mul_f32_e32 v78, 0xbe3c28d5, v63
	v_add_f32_e32 v34, v36, v34
	v_fma_f32 v36, v124, s17, -v78
	v_mul_f32_e32 v71, 0x3f06c442, v123
	v_add_f32_e32 v35, v36, v35
	v_mov_b32_e32 v36, v71
	v_fmac_f32_e32 v36, 0xbf59a7d5, v64
	v_mul_f32_e32 v81, 0x3f06c442, v65
	v_add_f32_e32 v34, v36, v34
	v_fma_f32 v36, v140, s19, -v81
	v_mul_f32_e32 v74, 0x3f763a35, v139
	v_add_f32_e32 v35, v36, v35
	v_mov_b32_e32 v36, v74
	v_fmac_f32_e32 v36, 0xbe8c1d8e, v68
	v_mul_f32_e32 v89, 0x3f763a35, v75
	v_add_f32_e32 v34, v36, v34
	v_fma_f32 v36, v166, s18, -v89
	v_mul_f32_e32 v77, 0x3f65296c, v165
	v_add_f32_e32 v35, v36, v35
	v_mov_b32_e32 v36, v77
	v_fmac_f32_e32 v36, 0x3ee437d1, v80
	v_mul_f32_e32 v90, 0x3f65296c, v91
	v_add_f32_e32 v34, v36, v34
	v_fma_f32 v36, v144, s14, -v90
	v_mul_f32_e32 v79, 0x3eb8f4ab, v178
	v_add_f32_e32 v35, v36, v35
	v_mov_b32_e32 v36, v79
	v_fmac_f32_e32 v36, 0x3f6eb680, v94
	v_mul_f32_e32 v93, 0x3eb8f4ab, v99
	v_add_f32_e32 v82, v36, v34
	v_fma_f32 v34, v152, s6, -v93
	v_mul_f32_e32 v97, 0xbf65296c, v88
	v_add_f32_e32 v83, v34, v35
	v_mov_b32_e32 v34, v97
	v_mul_f32_e32 v98, 0xbf4c4adb, v96
	v_fmac_f32_e32 v34, 0x3ee437d1, v46
	v_mov_b32_e32 v35, v98
	v_add_f32_e32 v34, v34, v0
	v_fmac_f32_e32 v35, 0xbf1a4643, v50
	v_mul_f32_e32 v107, 0xbf65296c, v49
	v_add_f32_e32 v34, v35, v34
	v_fma_f32 v35, v95, s14, -v107
	v_mul_f32_e32 v108, 0xbf4c4adb, v53
	v_add_f32_e32 v35, v35, v1
	v_fma_f32 v36, v102, s16, -v108
	v_mul_f32_e32 v100, 0x3e3c28d5, v103
	v_add_f32_e32 v35, v36, v35
	v_mov_b32_e32 v36, v100
	v_fmac_f32_e32 v36, 0xbf7ba420, v55
	v_mul_f32_e32 v110, 0x3e3c28d5, v59
	v_add_f32_e32 v34, v36, v34
	v_fma_f32 v36, v117, s17, -v110
	v_mul_f32_e32 v101, 0x3f763a35, v115
	v_add_f32_e32 v35, v36, v35
	v_mov_b32_e32 v36, v101
	v_fmac_f32_e32 v36, 0xbe8c1d8e, v61
	;; [unrolled: 7-line block ×6, first 2 shown]
	v_mul_f32_e32 v119, 0xbf06c442, v99
	v_add_f32_e32 v84, v36, v34
	v_fma_f32 v34, v152, s19, -v119
	v_mul_f32_e32 v130, 0xbf7ee86f, v88
	v_add_f32_e32 v85, v34, v35
	v_mov_b32_e32 v34, v130
	v_mul_f32_e32 v132, 0xbe3c28d5, v96
	v_fmac_f32_e32 v34, 0x3dbcf732, v46
	v_mov_b32_e32 v35, v132
	v_add_f32_e32 v34, v34, v0
	v_fmac_f32_e32 v35, 0xbf7ba420, v50
	v_mul_f32_e32 v149, 0xbf7ee86f, v49
	v_add_f32_e32 v34, v35, v34
	v_fma_f32 v35, v95, s15, -v149
	v_mul_f32_e32 v150, 0xbe3c28d5, v53
	v_add_f32_e32 v35, v35, v1
	v_fma_f32 v36, v102, s17, -v150
	v_mul_f32_e32 v137, 0x3f763a35, v103
	v_add_f32_e32 v35, v36, v35
	v_mov_b32_e32 v36, v137
	v_fmac_f32_e32 v36, 0xbe8c1d8e, v55
	v_mul_f32_e32 v155, 0x3f763a35, v59
	v_add_f32_e32 v34, v36, v34
	v_fma_f32 v36, v117, s18, -v155
	v_mul_f32_e32 v141, 0x3eb8f4ab, v115
	v_add_f32_e32 v35, v36, v35
	v_mov_b32_e32 v36, v141
	v_fmac_f32_e32 v36, 0x3f6eb680, v61
	;; [unrolled: 7-line block ×6, first 2 shown]
	v_mul_f32_e32 v175, 0x3f2c7751, v99
	v_add_f32_e32 v86, v36, v34
	v_fma_f32 v34, v152, s7, -v175
	v_add_f32_e32 v87, v34, v35
	s_barrier
	s_and_saveexec_b64 s[4:5], s[0:1]
	s_cbranch_execz .LBB0_7
; %bb.6:
	v_mul_f32_e32 v198, 0xbe8c1d8e, v95
	v_mov_b32_e32 v34, v198
	v_mul_f32_e32 v199, 0xbf59a7d5, v102
	v_fmac_f32_e32 v34, 0x3f763a35, v49
	v_mov_b32_e32 v35, v199
	v_add_f32_e32 v34, v34, v1
	v_fmac_f32_e32 v35, 0xbf06c442, v53
	v_mul_f32_e32 v200, 0x3f3d2fb0, v117
	v_add_f32_e32 v34, v35, v34
	v_mov_b32_e32 v35, v200
	v_fmac_f32_e32 v35, 0xbf2c7751, v59
	v_mul_f32_e32 v201, 0x3ee437d1, v124
	v_add_f32_e32 v34, v35, v34
	v_mov_b32_e32 v35, v201
	v_fmac_f32_e32 v35, 0x3f65296c, v63
	v_mul_f32_e32 v202, 0xbf7ba420, v140
	v_add_f32_e32 v34, v35, v34
	v_mov_b32_e32 v35, v202
	v_fmac_f32_e32 v35, 0x3e3c28d5, v65
	v_mul_f32_e32 v203, 0x3dbcf732, v166
	v_add_f32_e32 v34, v35, v34
	v_mov_b32_e32 v35, v203
	v_fmac_f32_e32 v35, 0xbf7ee86f, v75
	v_mul_f32_e32 v204, 0x3f6eb680, v144
	v_add_f32_e32 v34, v35, v34
	v_mov_b32_e32 v35, v204
	v_fmac_f32_e32 v35, 0x3eb8f4ab, v91
	v_mul_f32_e32 v205, 0xbf1a4643, v152
	v_add_f32_e32 v34, v35, v34
	v_mov_b32_e32 v35, v205
	v_fmac_f32_e32 v35, 0x3f4c4adb, v99
	v_mul_f32_e32 v206, 0xbf763a35, v88
	v_add_f32_e32 v35, v35, v34
	v_mov_b32_e32 v34, v206
	v_mul_f32_e32 v207, 0x3f06c442, v96
	v_fmac_f32_e32 v34, 0xbe8c1d8e, v46
	v_mov_b32_e32 v36, v207
	v_add_f32_e32 v34, v34, v0
	v_fmac_f32_e32 v36, 0xbf59a7d5, v50
	v_mul_f32_e32 v208, 0x3f2c7751, v103
	v_add_f32_e32 v34, v36, v34
	v_mov_b32_e32 v36, v208
	v_fmac_f32_e32 v36, 0x3f3d2fb0, v55
	v_mul_f32_e32 v209, 0xbf65296c, v115
	v_add_f32_e32 v34, v36, v34
	v_mov_b32_e32 v36, v209
	v_fmac_f32_e32 v36, 0x3ee437d1, v61
	v_mul_f32_e32 v210, 0xbe3c28d5, v123
	v_add_f32_e32 v34, v36, v34
	v_mov_b32_e32 v36, v210
	v_fmac_f32_e32 v36, 0xbf7ba420, v64
	v_mul_f32_e32 v211, 0x3f7ee86f, v139
	v_add_f32_e32 v34, v36, v34
	v_mov_b32_e32 v36, v211
	v_fmac_f32_e32 v36, 0x3dbcf732, v68
	v_mul_f32_e32 v212, 0xbeb8f4ab, v165
	v_add_f32_e32 v34, v36, v34
	v_mov_b32_e32 v36, v212
	v_fmac_f32_e32 v36, 0x3f6eb680, v80
	v_mul_f32_e32 v213, 0xbf4c4adb, v178
	v_add_f32_e32 v34, v36, v34
	v_mov_b32_e32 v36, v213
	v_fmac_f32_e32 v36, 0xbf1a4643, v94
	v_mul_f32_e32 v214, 0xbf1a4643, v95
	v_add_f32_e32 v34, v36, v34
	;; [unrolled: 32-line block ×5, first 2 shown]
	v_mov_b32_e32 v179, v238
	v_mul_f32_e32 v239, 0x3f65296c, v96
	v_fmac_f32_e32 v179, 0xbf59a7d5, v46
	v_mov_b32_e32 v240, v239
	v_add_f32_e32 v179, v179, v0
	v_fmac_f32_e32 v240, 0x3ee437d1, v50
	v_add_f32_e32 v179, v240, v179
	v_mul_f32_e32 v240, 0xbf7ee86f, v103
	v_mov_b32_e32 v241, v240
	v_fmac_f32_e32 v241, 0x3dbcf732, v55
	v_add_f32_e32 v179, v241, v179
	v_mul_f32_e32 v241, 0x3f4c4adb, v115
	v_mov_b32_e32 v242, v241
	;; [unrolled: 4-line block ×6, first 2 shown]
	v_mul_f32_e32 v125, 0x3f6eb680, v95
	v_mul_f32_e32 v146, 0x3f3d2fb0, v95
	;; [unrolled: 1-line block ×4, first 2 shown]
	v_fmac_f32_e32 v246, 0xbe8c1d8e, v94
	v_mul_f32_e32 v95, 0xbf7ba420, v95
	v_mul_f32_e32 v127, 0x3f3d2fb0, v102
	;; [unrolled: 1-line block ×5, first 2 shown]
	v_add_f32_e32 v179, v246, v179
	v_mov_b32_e32 v246, v95
	v_mul_f32_e32 v102, 0x3f6eb680, v102
	v_fmac_f32_e32 v246, 0x3e3c28d5, v49
	v_mov_b32_e32 v247, v102
	v_mul_f32_e32 v129, 0x3ee437d1, v117
	v_mul_f32_e32 v157, 0xbf1a4643, v117
	;; [unrolled: 1-line block ×4, first 2 shown]
	v_add_f32_e32 v246, v246, v1
	v_fmac_f32_e32 v247, 0xbeb8f4ab, v53
	v_mul_f32_e32 v117, 0xbf59a7d5, v117
	v_add_f32_e32 v246, v247, v246
	v_mov_b32_e32 v247, v117
	v_fmac_f32_e32 v247, 0x3f06c442, v59
	v_add_f32_e32 v246, v247, v246
	v_mul_f32_e32 v247, 0x3f3d2fb0, v124
	v_mul_f32_e32 v134, 0x3dbcf732, v124
	;; [unrolled: 1-line block ×5, first 2 shown]
	v_mov_b32_e32 v124, v247
	v_mul_f32_e32 v138, 0xbe8c1d8e, v140
	v_mul_f32_e32 v168, 0xbf59a7d5, v140
	;; [unrolled: 1-line block ×4, first 2 shown]
	v_fmac_f32_e32 v124, 0xbf2c7751, v63
	v_mul_f32_e32 v140, 0xbf1a4643, v140
	v_add_f32_e32 v124, v124, v246
	v_mov_b32_e32 v246, v140
	v_mul_f32_e32 v143, 0xbf1a4643, v166
	v_mul_f32_e32 v172, 0xbe8c1d8e, v166
	;; [unrolled: 1-line block ×4, first 2 shown]
	v_fmac_f32_e32 v246, 0x3f4c4adb, v65
	v_mul_f32_e32 v166, 0x3ee437d1, v166
	v_add_f32_e32 v124, v246, v124
	v_mov_b32_e32 v246, v166
	v_fmac_f32_e32 v246, 0xbf65296c, v75
	v_add_f32_e32 v124, v246, v124
	v_mul_f32_e32 v246, 0xbe8c1d8e, v144
	v_mov_b32_e32 v248, v246
	v_fmac_f32_e32 v248, 0x3f763a35, v91
	v_add_f32_e32 v124, v248, v124
	v_mul_f32_e32 v248, 0x3dbcf732, v152
	v_mov_b32_e32 v249, v248
	v_fmac_f32_e32 v249, 0xbf7ee86f, v99
	v_mul_f32_e32 v88, 0xbe3c28d5, v88
	v_add_f32_e32 v124, v249, v124
	v_mov_b32_e32 v249, v88
	v_mul_f32_e32 v96, 0x3eb8f4ab, v96
	v_fmac_f32_e32 v95, 0xbe3c28d5, v49
	v_fmac_f32_e32 v249, 0xbf7ba420, v46
	v_mov_b32_e32 v250, v96
	v_add_f32_e32 v95, v95, v1
	v_fmac_f32_e32 v102, 0x3eb8f4ab, v53
	v_add_f32_e32 v249, v249, v0
	v_fmac_f32_e32 v250, 0x3f6eb680, v50
	v_mul_f32_e32 v103, 0xbf06c442, v103
	v_add_f32_e32 v95, v102, v95
	v_fmac_f32_e32 v117, 0xbf06c442, v59
	v_add_f32_e32 v249, v250, v249
	v_mov_b32_e32 v250, v103
	v_add_f32_e32 v95, v117, v95
	v_fmac_f32_e32 v247, 0x3f2c7751, v63
	v_fmac_f32_e32 v250, 0xbf59a7d5, v55
	v_mul_f32_e32 v115, 0x3f2c7751, v115
	v_add_f32_e32 v95, v247, v95
	v_fmac_f32_e32 v140, 0xbf4c4adb, v65
	v_fma_f32 v88, v46, s17, -v88
	v_add_f32_e32 v249, v250, v249
	v_mov_b32_e32 v250, v115
	v_add_f32_e32 v95, v140, v95
	v_fmac_f32_e32 v166, 0x3f65296c, v75
	v_add_f32_e32 v88, v88, v0
	v_fma_f32 v96, v50, s6, -v96
	v_fmac_f32_e32 v250, 0x3f3d2fb0, v61
	v_add_f32_e32 v95, v166, v95
	v_fmac_f32_e32 v246, 0xbf763a35, v91
	v_add_f32_e32 v88, v96, v88
	v_fma_f32 v96, v55, s19, -v103
	v_add_f32_e32 v249, v250, v249
	v_mul_f32_e32 v250, 0xbf4c4adb, v123
	v_add_f32_e32 v95, v246, v95
	v_add_f32_e32 v88, v96, v88
	v_fma_f32 v96, v61, s7, -v115
	v_fmac_f32_e32 v248, 0x3f7ee86f, v99
	v_mul_f32_e32 v139, 0x3f65296c, v139
	v_add_f32_e32 v88, v96, v88
	v_add_f32_e32 v96, v248, v95
	v_fma_f32 v95, v64, s16, -v250
	v_mul_f32_e32 v165, 0xbf763a35, v165
	v_add_f32_e32 v88, v95, v88
	v_fma_f32 v95, v68, s14, -v139
	v_mul_f32_e32 v178, 0x3f7ee86f, v178
	v_add_f32_e32 v88, v95, v88
	v_fma_f32 v95, v80, s18, -v165
	v_add_f32_e32 v88, v95, v88
	v_fma_f32 v95, v94, s15, -v178
	v_fmac_f32_e32 v230, 0xbf06c442, v49
	v_add_f32_e32 v95, v95, v88
	v_add_f32_e32 v88, v230, v1
	v_fmac_f32_e32 v231, 0x3f65296c, v53
	v_add_f32_e32 v88, v231, v88
	v_fmac_f32_e32 v232, 0xbf7ee86f, v59
	;; [unrolled: 2-line block ×7, first 2 shown]
	v_add_f32_e32 v103, v237, v88
	v_fma_f32 v88, v46, s19, -v238
	v_add_f32_e32 v88, v88, v0
	v_fma_f32 v102, v50, s14, -v239
	;; [unrolled: 2-line block ×8, first 2 shown]
	v_fmac_f32_e32 v214, 0xbf4c4adb, v49
	v_add_f32_e32 v102, v102, v88
	v_add_f32_e32 v88, v214, v1
	v_fmac_f32_e32 v215, 0x3f763a35, v53
	v_fmac_f32_e32 v198, 0xbf763a35, v49
	v_add_f32_e32 v88, v215, v88
	v_fmac_f32_e32 v216, 0xbeb8f4ab, v59
	v_add_f32_e32 v49, v198, v1
	;; [unrolled: 2-line block ×12, first 2 shown]
	v_fmac_f32_e32 v204, 0xbeb8f4ab, v91
	v_mul_f32_e32 v120, 0x3f6eb680, v46
	v_mul_f32_e32 v133, 0x3f3d2fb0, v46
	;; [unrolled: 1-line block ×4, first 2 shown]
	v_add_f32_e32 v140, v221, v88
	v_fma_f32 v88, v46, s16, -v222
	v_add_f32_e32 v49, v204, v49
	v_fmac_f32_e32 v205, 0xbf4c4adb, v99
	v_fma_f32 v46, v46, s18, -v206
	v_add_f32_e32 v65, v205, v49
	v_add_f32_e32 v46, v46, v0
	v_fma_f32 v49, v50, s19, -v207
	v_add_f32_e32 v46, v49, v46
	v_fma_f32 v49, v55, s7, -v208
	v_mov_b32_e32 v123, v250
	v_add_f32_e32 v46, v49, v46
	v_fma_f32 v49, v61, s14, -v209
	v_fmac_f32_e32 v123, 0xbf1a4643, v64
	v_add_f32_e32 v46, v49, v46
	v_fma_f32 v49, v64, s17, -v210
	v_add_f32_e32 v123, v123, v249
	v_mov_b32_e32 v249, v139
	v_add_f32_e32 v88, v88, v0
	v_fma_f32 v139, v50, s18, -v223
	v_add_f32_e32 v46, v49, v46
	v_fma_f32 v49, v68, s15, -v211
	;; [unrolled: 2-line block ×6, first 2 shown]
	v_mul_f32_e32 v128, 0xbe8c1d8e, v64
	v_mul_f32_e32 v154, 0xbf59a7d5, v64
	;; [unrolled: 1-line block ×4, first 2 shown]
	v_fmac_f32_e32 v249, 0x3ee437d1, v68
	v_add_f32_e32 v88, v139, v88
	v_fma_f32 v139, v64, s15, -v226
	v_add_f32_e32 v64, v49, v46
	v_add_f32_e32 v46, v149, v182
	;; [unrolled: 1-line block ×3, first 2 shown]
	v_mov_b32_e32 v249, v165
	v_add_f32_e32 v46, v46, v1
	v_add_f32_e32 v49, v150, v184
	v_fmac_f32_e32 v249, 0xbe8c1d8e, v80
	v_add_f32_e32 v46, v49, v46
	v_add_f32_e32 v49, v155, v192
	;; [unrolled: 1-line block ×3, first 2 shown]
	v_mov_b32_e32 v249, v178
	v_add_f32_e32 v46, v49, v46
	v_add_f32_e32 v49, v159, v190
	v_fmac_f32_e32 v249, 0x3dbcf732, v94
	v_add_f32_e32 v46, v49, v46
	v_add_f32_e32 v49, v163, v193
	v_mul_f32_e32 v148, 0xbf59a7d5, v144
	v_add_f32_e32 v123, v249, v123
	v_mul_f32_e32 v249, 0x3ee437d1, v144
	v_mul_f32_e32 v252, 0x3dbcf732, v144
	;; [unrolled: 1-line block ×3, first 2 shown]
	v_add_f32_e32 v46, v49, v46
	v_add_f32_e32 v49, v169, v195
	v_mul_f32_e32 v253, 0xbf7ba420, v152
	v_mul_f32_e32 v246, 0x3f6eb680, v152
	;; [unrolled: 1-line block ×4, first 2 shown]
	v_add_f32_e32 v46, v49, v46
	v_add_f32_e32 v49, v171, v144
	;; [unrolled: 1-line block ×4, first 2 shown]
	v_mul_f32_e32 v121, 0x3f3d2fb0, v50
	v_mul_f32_e32 v136, 0x3dbcf732, v50
	;; [unrolled: 1-line block ×4, first 2 shown]
	v_add_f32_e32 v50, v49, v46
	v_sub_f32_e32 v46, v176, v130
	v_mul_f32_e32 v188, 0xbe8c1d8e, v55
	v_add_f32_e32 v46, v46, v0
	v_sub_f32_e32 v49, v185, v132
	v_mul_f32_e32 v189, 0x3f6eb680, v61
	v_add_f32_e32 v46, v49, v46
	v_sub_f32_e32 v49, v188, v137
	v_add_f32_e32 v46, v49, v46
	v_sub_f32_e32 v49, v189, v141
	v_mul_f32_e32 v187, 0xbf59a7d5, v68
	v_add_f32_e32 v46, v49, v46
	v_sub_f32_e32 v49, v191, v145
	v_mul_f32_e32 v117, 0xbf1a4643, v80
	;; [unrolled: 3-line block ×3, first 2 shown]
	v_add_f32_e32 v46, v49, v46
	v_sub_f32_e32 v49, v117, v156
	v_add_f32_e32 v46, v49, v46
	v_sub_f32_e32 v49, v115, v160
	v_add_f32_e32 v49, v49, v46
	v_add_f32_e32 v46, v107, v92
	;; [unrolled: 1-line block ×17, first 2 shown]
	v_sub_f32_e32 v46, v161, v97
	v_mul_f32_e32 v170, 0xbf7ba420, v55
	v_add_f32_e32 v46, v46, v0
	v_sub_f32_e32 v53, v167, v98
	v_mul_f32_e32 v174, 0xbe8c1d8e, v61
	v_add_f32_e32 v46, v53, v46
	v_sub_f32_e32 v53, v170, v100
	v_add_f32_e32 v46, v53, v46
	v_sub_f32_e32 v53, v174, v101
	v_mul_f32_e32 v194, 0x3f6eb680, v68
	v_add_f32_e32 v46, v53, v46
	v_sub_f32_e32 v53, v177, v104
	v_mul_f32_e32 v251, 0x3dbcf732, v80
	;; [unrolled: 3-line block ×3, first 2 shown]
	v_add_f32_e32 v46, v53, v46
	v_sub_f32_e32 v53, v251, v111
	v_add_f32_e32 v46, v53, v46
	v_sub_f32_e32 v53, v254, v113
	v_add_f32_e32 v98, v53, v46
	v_add_f32_e32 v46, v72, v146
	;; [unrolled: 1-line block ×16, first 2 shown]
	v_mul_f32_e32 v131, 0xbf1a4643, v68
	v_mul_f32_e32 v158, 0xbe8c1d8e, v68
	v_add_f32_e32 v88, v139, v88
	v_fma_f32 v139, v68, s7, -v227
	v_add_f32_e32 v68, v53, v46
	v_sub_f32_e32 v46, v133, v66
	v_add_f32_e32 v39, v39, v125
	v_sub_f32_e32 v38, v120, v38
	v_add_f32_e32 v46, v46, v0
	v_add_f32_e32 v39, v39, v1
	;; [unrolled: 1-line block ×19, first 2 shown]
	v_mul_f32_e32 v122, 0x3ee437d1, v55
	v_add_f32_e32 v41, v41, v127
	v_sub_f32_e32 v40, v121, v40
	v_add_f32_e32 v1, v19, v1
	v_add_f32_e32 v0, v18, v0
	v_mul_f32_e32 v142, 0xbf1a4643, v55
	v_mul_f32_e32 v126, 0x3dbcf732, v61
	v_sub_f32_e32 v53, v136, v67
	v_add_f32_e32 v39, v41, v39
	v_add_f32_e32 v41, v43, v129
	;; [unrolled: 1-line block ×3, first 2 shown]
	v_sub_f32_e32 v40, v122, v42
	v_add_f32_e32 v1, v21, v1
	v_add_f32_e32 v0, v20, v0
	v_mul_f32_e32 v147, 0xbf7ba420, v61
	v_add_f32_e32 v46, v53, v46
	v_sub_f32_e32 v53, v142, v69
	v_add_f32_e32 v39, v41, v39
	v_add_f32_e32 v41, v45, v134
	v_add_f32_e32 v38, v40, v38
	v_sub_f32_e32 v40, v126, v44
	v_add_f32_e32 v1, v23, v1
	v_add_f32_e32 v0, v22, v0
	;; [unrolled: 4-line block ×4, first 2 shown]
	v_mul_f32_e32 v135, 0xbf59a7d5, v80
	v_add_f32_e32 v46, v53, v46
	v_sub_f32_e32 v53, v154, v71
	v_add_f32_e32 v39, v41, v39
	v_add_f32_e32 v41, v52, v143
	;; [unrolled: 1-line block ×3, first 2 shown]
	v_sub_f32_e32 v40, v131, v51
	v_add_f32_e32 v1, v27, v1
	v_add_f32_e32 v0, v26, v0
	v_mul_f32_e32 v164, 0x3ee437d1, v80
	v_mul_f32_e32 v247, 0xbf7ba420, v94
	v_add_f32_e32 v46, v53, v46
	v_sub_f32_e32 v53, v158, v74
	v_add_f32_e32 v39, v41, v39
	v_add_f32_e32 v41, v58, v148
	v_add_f32_e32 v38, v40, v38
	v_sub_f32_e32 v40, v135, v54
	v_add_f32_e32 v1, v29, v1
	v_add_f32_e32 v0, v28, v0
	v_mul_f32_e32 v166, 0x3f6eb680, v94
	v_add_f32_e32 v88, v139, v88
	v_fma_f32 v139, v80, s17, -v228
	v_add_f32_e32 v46, v53, v46
	v_sub_f32_e32 v53, v164, v77
	v_add_f32_e32 v39, v41, v39
	v_add_f32_e32 v41, v62, v253
	;; [unrolled: 1-line block ×3, first 2 shown]
	v_sub_f32_e32 v40, v247, v60
	v_add_f32_e32 v1, v31, v1
	v_add_f32_e32 v0, v30, v0
	v_mul_lo_u16_e32 v2, 17, v197
	v_add_f32_e32 v88, v139, v88
	v_fma_f32 v139, v94, s14, -v229
	v_add_f32_e32 v46, v53, v46
	v_sub_f32_e32 v53, v166, v79
	v_add_f32_e32 v39, v41, v39
	v_add_f32_e32 v38, v40, v38
	v_add_f32_e32 v1, v33, v1
	v_add_f32_e32 v0, v32, v0
	v_lshlrev_b32_e32 v2, 3, v2
	v_add_f32_e32 v139, v139, v88
	v_add_f32_e32 v67, v53, v46
	ds_write2_b64 v2, v[0:1], v[38:39] offset1:1
	ds_write2_b64 v2, v[67:68], v[98:99] offset0:2 offset1:3
	ds_write2_b64 v2, v[49:50], v[64:65] offset0:4 offset1:5
	;; [unrolled: 1-line block ×7, first 2 shown]
	ds_write_b64 v2, v[56:57] offset:128
.LBB0_7:
	s_or_b64 exec, exec, s[4:5]
	s_load_dwordx4 s[4:7], s[2:3], 0x0
	s_movk_i32 s2, 0xf1
	v_mul_lo_u16_sdwa v0, v197, s2 dst_sel:DWORD dst_unused:UNUSED_PAD src0_sel:BYTE_0 src1_sel:DWORD
	v_lshrrev_b16_e32 v1, 12, v0
	v_mul_lo_u16_e32 v0, 17, v1
	v_sub_u16_e32 v0, v197, v0
	v_and_b32_e32 v2, 0xff, v0
	v_mul_u32_u24_e32 v0, 12, v2
	v_lshlrev_b32_e32 v0, 3, v0
	s_waitcnt lgkmcnt(0)
	s_barrier
	global_load_dwordx4 v[32:35], v0, s[12:13]
	global_load_dwordx4 v[24:27], v0, s[12:13] offset:16
	global_load_dwordx4 v[20:23], v0, s[12:13] offset:32
	;; [unrolled: 1-line block ×5, first 2 shown]
	ds_read2_b64 v[3:6], v105 offset1:153
	v_add_u32_e32 v7, 0x800, v105
	v_add_u32_e32 v11, 0x1000, v105
	;; [unrolled: 1-line block ×5, first 2 shown]
	ds_read_b64 v[52:53], v105 offset:14688
	ds_read2_b64 v[7:10], v7 offset0:50 offset1:203
	ds_read2_b64 v[11:14], v11 offset0:100 offset1:253
	ds_read2_b64 v[40:43], v15 offset0:22 offset1:175
	ds_read2_b64 v[44:47], v44 offset0:72 offset1:225
	ds_read2_b64 v[48:51], v0 offset0:58 offset1:211
	s_mov_b32 s14, 0x3f62ad3f
	s_mov_b32 s3, 0x3f116cb1
	;; [unrolled: 1-line block ×6, first 2 shown]
	v_mul_u32_u24_e32 v1, 0xdd, v1
	v_add_lshl_u32 v107, v1, v2, 3
	v_add_u32_e32 v97, 0xd00, v105
	v_add_u32_e32 v96, 0x1b00, v105
	;; [unrolled: 1-line block ×3, first 2 shown]
	s_waitcnt vmcnt(0) lgkmcnt(0)
	s_barrier
	s_waitcnt lgkmcnt(0)
                                        ; implicit-def: $vgpr88
	v_mul_f32_e32 v15, v6, v33
	v_mul_f32_e32 v54, v5, v33
	;; [unrolled: 1-line block ×4, first 2 shown]
	v_fma_f32 v15, v5, v32, -v15
	v_fmac_f32_e32 v54, v6, v32
	v_mul_f32_e32 v59, v10, v25
	v_mul_f32_e32 v60, v9, v25
	v_fma_f32 v7, v7, v34, -v55
	v_fmac_f32_e32 v58, v8, v34
	v_add_f32_e32 v5, v3, v15
	v_add_f32_e32 v6, v4, v54
	v_mul_f32_e32 v61, v12, v27
	v_mul_f32_e32 v62, v11, v27
	v_fma_f32 v8, v9, v24, -v59
	v_fmac_f32_e32 v60, v10, v24
	v_add_f32_e32 v5, v5, v7
	v_add_f32_e32 v6, v6, v58
	;; [unrolled: 6-line block ×7, first 2 shown]
	v_mul_f32_e32 v73, v49, v39
	v_mul_f32_e32 v74, v48, v39
	;; [unrolled: 1-line block ×3, first 2 shown]
	v_fma_f32 v14, v46, v36, -v71
	v_fmac_f32_e32 v72, v47, v36
	v_add_f32_e32 v5, v5, v13
	v_add_f32_e32 v6, v6, v70
	v_mul_f32_e32 v75, v51, v29
	v_mul_f32_e32 v76, v50, v29
	v_fma_f32 v40, v48, v38, -v73
	v_fmac_f32_e32 v74, v49, v38
	v_fma_f32 v42, v52, v30, -v77
	v_add_f32_e32 v5, v5, v14
	v_add_f32_e32 v6, v6, v72
	v_mul_f32_e32 v78, v52, v31
	v_fma_f32 v41, v50, v28, -v75
	v_fmac_f32_e32 v76, v51, v28
	v_add_f32_e32 v5, v5, v40
	v_add_f32_e32 v6, v6, v74
	;; [unrolled: 1-line block ×3, first 2 shown]
	v_sub_f32_e32 v15, v15, v42
	v_fmac_f32_e32 v78, v53, v30
	v_add_f32_e32 v5, v5, v41
	v_add_f32_e32 v6, v6, v76
	v_mul_f32_e32 v47, 0xbeedf032, v15
	v_mul_f32_e32 v51, 0xbf52af12, v15
	;; [unrolled: 1-line block ×6, first 2 shown]
	v_add_f32_e32 v5, v5, v42
	v_add_f32_e32 v6, v6, v78
	;; [unrolled: 1-line block ×3, first 2 shown]
	v_sub_f32_e32 v42, v54, v78
	v_mov_b32_e32 v48, v47
	v_mov_b32_e32 v52, v51
	;; [unrolled: 1-line block ×6, first 2 shown]
	v_fmac_f32_e32 v48, 0x3f62ad3f, v44
	v_fma_f32 v47, v44, s14, -v47
	v_fmac_f32_e32 v52, 0x3f116cb1, v44
	v_fma_f32 v51, v44, s3, -v51
	;; [unrolled: 2-line block ×6, first 2 shown]
	v_mul_f32_e32 v45, 0xbeedf032, v42
	v_add_f32_e32 v48, v4, v48
	v_add_f32_e32 v47, v4, v47
	v_mul_f32_e32 v49, 0xbf52af12, v42
	v_add_f32_e32 v52, v4, v52
	v_add_f32_e32 v51, v4, v51
	;; [unrolled: 3-line block ×6, first 2 shown]
	v_add_f32_e32 v15, v7, v41
	v_sub_f32_e32 v7, v7, v41
	v_sub_f32_e32 v41, v58, v76
	v_fma_f32 v46, v43, s14, -v45
	v_fmac_f32_e32 v45, 0x3f62ad3f, v43
	v_fma_f32 v50, v43, s3, -v49
	v_fmac_f32_e32 v49, 0x3f116cb1, v43
	;; [unrolled: 2-line block ×6, first 2 shown]
	v_mul_f32_e32 v43, 0xbf52af12, v41
	v_add_f32_e32 v46, v3, v46
	v_fma_f32 v44, v15, s3, -v43
	v_add_f32_e32 v45, v3, v45
	v_add_f32_e32 v50, v3, v50
	;; [unrolled: 1-line block ×13, first 2 shown]
	v_mul_f32_e32 v46, 0xbf52af12, v7
	v_fmac_f32_e32 v43, 0x3f116cb1, v15
	v_mov_b32_e32 v58, v46
	v_add_f32_e32 v43, v43, v45
	v_fma_f32 v45, v42, s3, -v46
	v_mul_f32_e32 v46, 0xbf6f5d39, v41
	v_add_f32_e32 v45, v45, v47
	v_fma_f32 v47, v15, s15, -v46
	v_fmac_f32_e32 v58, 0x3f116cb1, v42
	v_add_f32_e32 v47, v47, v50
	v_mul_f32_e32 v50, 0xbf6f5d39, v7
	v_fmac_f32_e32 v46, 0xbeb58ec6, v15
	v_add_f32_e32 v48, v58, v48
	v_mov_b32_e32 v58, v50
	v_add_f32_e32 v46, v46, v49
	v_fma_f32 v49, v42, s15, -v50
	v_mul_f32_e32 v50, 0xbe750f2a, v41
	v_add_f32_e32 v49, v49, v51
	v_fma_f32 v51, v15, s17, -v50
	v_fmac_f32_e32 v58, 0xbeb58ec6, v42
	v_add_f32_e32 v51, v51, v54
	v_mul_f32_e32 v54, 0xbe750f2a, v7
	v_add_f32_e32 v52, v58, v52
	v_mov_b32_e32 v58, v54
	v_fmac_f32_e32 v50, 0xbf788fa5, v15
	v_fmac_f32_e32 v58, 0xbf788fa5, v42
	v_add_f32_e32 v50, v50, v53
	v_fma_f32 v53, v42, s17, -v54
	v_mul_f32_e32 v54, 0x3f29c268, v41
	v_add_f32_e32 v58, v58, v59
	v_add_f32_e32 v53, v53, v55
	v_fma_f32 v55, v15, s16, -v54
	v_mul_f32_e32 v59, 0x3f29c268, v7
	v_add_f32_e32 v55, v55, v63
	v_mov_b32_e32 v63, v59
	v_fmac_f32_e32 v54, 0xbf3f9e67, v15
	v_fmac_f32_e32 v63, 0xbf3f9e67, v42
	v_add_f32_e32 v54, v54, v61
	v_fma_f32 v59, v42, s16, -v59
	v_mul_f32_e32 v61, 0x3f7e222b, v41
	v_add_f32_e32 v63, v63, v67
	v_add_f32_e32 v59, v59, v65
	v_fma_f32 v65, v15, s2, -v61
	v_mul_f32_e32 v67, 0x3f7e222b, v7
	v_add_f32_e32 v65, v65, v71
	v_mov_b32_e32 v71, v67
	v_fma_f32 v67, v42, s2, -v67
	v_mul_f32_e32 v7, 0x3eedf032, v7
	v_fmac_f32_e32 v61, 0x3df6dbef, v15
	v_add_f32_e32 v67, v67, v73
	v_mul_f32_e32 v41, 0x3eedf032, v41
	v_mov_b32_e32 v73, v7
	v_fma_f32 v7, v42, s14, -v7
	v_add_f32_e32 v61, v61, v69
	v_fma_f32 v69, v15, s14, -v41
	v_fmac_f32_e32 v41, 0x3f62ad3f, v15
	v_add_f32_e32 v4, v7, v4
	v_add_f32_e32 v7, v8, v40
	v_sub_f32_e32 v8, v8, v40
	v_sub_f32_e32 v40, v60, v74
	v_add_f32_e32 v3, v41, v3
	v_mul_f32_e32 v41, 0xbf7e222b, v40
	v_fmac_f32_e32 v71, 0x3df6dbef, v42
	v_fmac_f32_e32 v73, 0x3f62ad3f, v42
	v_fma_f32 v42, v7, s2, -v41
	v_add_f32_e32 v15, v60, v74
	v_add_f32_e32 v42, v42, v44
	v_mul_f32_e32 v44, 0xbf7e222b, v8
	v_fmac_f32_e32 v41, 0x3df6dbef, v7
	v_mov_b32_e32 v60, v44
	v_add_f32_e32 v41, v41, v43
	v_fma_f32 v43, v15, s2, -v44
	v_mul_f32_e32 v44, 0xbe750f2a, v40
	v_add_f32_e32 v43, v43, v45
	v_fma_f32 v45, v7, s17, -v44
	v_fmac_f32_e32 v60, 0x3df6dbef, v15
	v_add_f32_e32 v45, v45, v47
	v_mul_f32_e32 v47, 0xbe750f2a, v8
	v_fmac_f32_e32 v44, 0xbf788fa5, v7
	v_add_f32_e32 v48, v60, v48
	v_mov_b32_e32 v60, v47
	v_add_f32_e32 v44, v44, v46
	v_fma_f32 v46, v15, s17, -v47
	v_mul_f32_e32 v47, 0x3f6f5d39, v40
	v_add_f32_e32 v46, v46, v49
	v_fma_f32 v49, v7, s15, -v47
	v_fmac_f32_e32 v60, 0xbf788fa5, v15
	v_add_f32_e32 v49, v49, v51
	v_mul_f32_e32 v51, 0x3f6f5d39, v8
	v_fmac_f32_e32 v47, 0xbeb58ec6, v7
	v_add_f32_e32 v52, v60, v52
	v_mov_b32_e32 v60, v51
	v_add_f32_e32 v47, v47, v50
	v_fma_f32 v50, v15, s15, -v51
	v_mul_f32_e32 v51, 0x3eedf032, v40
	v_add_f32_e32 v50, v50, v53
	v_fma_f32 v53, v7, s14, -v51
	v_fmac_f32_e32 v60, 0xbeb58ec6, v15
	v_add_f32_e32 v53, v53, v55
	v_mul_f32_e32 v55, 0x3eedf032, v8
	v_add_f32_e32 v58, v60, v58
	v_mov_b32_e32 v60, v55
	v_fmac_f32_e32 v51, 0x3f62ad3f, v7
	v_fmac_f32_e32 v60, 0x3f62ad3f, v15
	v_add_f32_e32 v51, v51, v54
	v_fma_f32 v54, v15, s14, -v55
	v_mul_f32_e32 v55, 0xbf52af12, v40
	v_add_f32_e32 v60, v60, v63
	v_add_f32_e32 v54, v54, v59
	v_fma_f32 v59, v7, s3, -v55
	v_mul_f32_e32 v63, 0xbf52af12, v8
	v_fmac_f32_e32 v55, 0x3f116cb1, v7
	v_mul_f32_e32 v40, 0xbf29c268, v40
	v_mul_f32_e32 v8, 0xbf29c268, v8
	v_add_f32_e32 v59, v59, v65
	v_mov_b32_e32 v65, v63
	v_add_f32_e32 v55, v55, v61
	v_fma_f32 v61, v15, s3, -v63
	v_fma_f32 v63, v7, s16, -v40
	v_fmac_f32_e32 v40, 0xbf3f9e67, v7
	v_fma_f32 v7, v15, s16, -v8
	v_add_f32_e32 v61, v61, v67
	v_mov_b32_e32 v67, v8
	v_add_f32_e32 v4, v7, v4
	v_add_f32_e32 v7, v9, v14
	v_sub_f32_e32 v9, v9, v14
	v_sub_f32_e32 v14, v62, v72
	v_fmac_f32_e32 v65, 0x3f116cb1, v15
	v_fmac_f32_e32 v67, 0xbf3f9e67, v15
	v_mul_f32_e32 v15, 0xbf6f5d39, v14
	v_add_f32_e32 v3, v40, v3
	v_fma_f32 v40, v7, s15, -v15
	v_add_f32_e32 v8, v62, v72
	v_add_f32_e32 v40, v40, v42
	v_mul_f32_e32 v42, 0xbf6f5d39, v9
	v_fmac_f32_e32 v15, 0xbeb58ec6, v7
	v_mov_b32_e32 v62, v42
	v_add_f32_e32 v15, v15, v41
	v_fma_f32 v41, v8, s15, -v42
	v_mul_f32_e32 v42, 0x3f29c268, v14
	v_add_f32_e32 v41, v41, v43
	v_fma_f32 v43, v7, s16, -v42
	v_fmac_f32_e32 v62, 0xbeb58ec6, v8
	v_add_f32_e32 v43, v43, v45
	v_mul_f32_e32 v45, 0x3f29c268, v9
	v_fmac_f32_e32 v42, 0xbf3f9e67, v7
	v_add_f32_e32 v48, v62, v48
	v_mov_b32_e32 v62, v45
	v_add_f32_e32 v42, v42, v44
	v_fma_f32 v44, v8, s16, -v45
	v_mul_f32_e32 v45, 0x3eedf032, v14
	v_add_f32_e32 v44, v44, v46
	v_fma_f32 v46, v7, s14, -v45
	v_fmac_f32_e32 v62, 0xbf3f9e67, v8
	v_add_f32_e32 v46, v46, v49
	v_mul_f32_e32 v49, 0x3eedf032, v9
	v_fmac_f32_e32 v45, 0x3f62ad3f, v7
	v_add_f32_e32 v52, v62, v52
	;; [unrolled: 11-line block ×3, first 2 shown]
	v_mov_b32_e32 v62, v53
	v_add_f32_e32 v49, v49, v51
	v_fma_f32 v51, v8, s2, -v53
	v_mul_f32_e32 v53, 0x3e750f2a, v14
	v_add_f32_e32 v51, v51, v54
	v_fma_f32 v54, v7, s17, -v53
	v_fmac_f32_e32 v62, 0x3df6dbef, v8
	v_add_f32_e32 v54, v54, v59
	v_mul_f32_e32 v59, 0x3e750f2a, v9
	v_fmac_f32_e32 v53, 0xbf788fa5, v7
	v_mul_f32_e32 v14, 0x3f52af12, v14
	v_mul_f32_e32 v9, 0x3f52af12, v9
	v_add_f32_e32 v60, v62, v60
	v_mov_b32_e32 v62, v59
	v_add_f32_e32 v53, v53, v55
	v_fma_f32 v55, v8, s17, -v59
	v_fma_f32 v59, v7, s3, -v14
	v_fmac_f32_e32 v14, 0x3f116cb1, v7
	v_fma_f32 v7, v8, s3, -v9
	v_add_f32_e32 v55, v55, v61
	v_mov_b32_e32 v61, v9
	v_add_f32_e32 v4, v7, v4
	v_add_f32_e32 v7, v10, v13
	v_sub_f32_e32 v9, v10, v13
	v_sub_f32_e32 v10, v64, v70
	v_mul_f32_e32 v13, 0xbf29c268, v10
	v_add_f32_e32 v69, v69, v77
	v_add_f32_e32 v3, v14, v3
	v_fma_f32 v14, v7, s16, -v13
	v_add_f32_e32 v63, v63, v69
	v_fmac_f32_e32 v62, 0xbf788fa5, v8
	v_fmac_f32_e32 v61, 0x3f116cb1, v8
	v_add_f32_e32 v8, v64, v70
	v_add_f32_e32 v14, v14, v40
	v_mul_f32_e32 v40, 0xbf29c268, v9
	v_fmac_f32_e32 v13, 0xbf3f9e67, v7
	v_add_f32_e32 v59, v59, v63
	v_mov_b32_e32 v63, v40
	v_add_f32_e32 v13, v13, v15
	v_fma_f32 v15, v8, s16, -v40
	v_mul_f32_e32 v40, 0x3f7e222b, v10
	v_add_f32_e32 v15, v15, v41
	v_fma_f32 v41, v7, s2, -v40
	v_fmac_f32_e32 v63, 0xbf3f9e67, v8
	v_add_f32_e32 v41, v41, v43
	v_mul_f32_e32 v43, 0x3f7e222b, v9
	v_fmac_f32_e32 v40, 0x3df6dbef, v7
	v_add_f32_e32 v48, v63, v48
	v_mov_b32_e32 v63, v43
	v_add_f32_e32 v40, v40, v42
	v_fma_f32 v42, v8, s2, -v43
	v_mul_f32_e32 v43, 0xbf52af12, v10
	v_add_f32_e32 v42, v42, v44
	v_fma_f32 v44, v7, s3, -v43
	v_fmac_f32_e32 v63, 0x3df6dbef, v8
	;; [unrolled: 11-line block ×3, first 2 shown]
	v_add_f32_e32 v47, v47, v50
	v_mul_f32_e32 v50, 0x3e750f2a, v9
	v_fmac_f32_e32 v46, 0xbf788fa5, v7
	v_add_f32_e32 v58, v63, v58
	v_mov_b32_e32 v63, v50
	v_add_f32_e32 v46, v46, v49
	v_fma_f32 v49, v8, s17, -v50
	v_mul_f32_e32 v50, 0x3eedf032, v10
	v_add_f32_e32 v73, v73, v78
	v_add_f32_e32 v49, v49, v51
	v_fma_f32 v51, v7, s14, -v50
	v_add_f32_e32 v67, v67, v73
	v_fmac_f32_e32 v63, 0xbf788fa5, v8
	v_add_f32_e32 v51, v51, v54
	v_mul_f32_e32 v54, 0x3eedf032, v9
	v_fmac_f32_e32 v50, 0x3f62ad3f, v7
	v_mul_f32_e32 v10, 0xbf6f5d39, v10
	v_add_f32_e32 v61, v61, v67
	v_add_f32_e32 v67, v63, v60
	v_mov_b32_e32 v60, v54
	v_add_f32_e32 v50, v50, v53
	v_fma_f32 v53, v8, s14, -v54
	v_fma_f32 v54, v7, s15, -v10
	v_mul_f32_e32 v9, 0xbf6f5d39, v9
	v_fmac_f32_e32 v10, 0xbeb58ec6, v7
	v_add_f32_e32 v73, v66, v68
	v_sub_f32_e32 v66, v66, v68
	v_add_f32_e32 v71, v71, v75
	v_add_f32_e32 v53, v53, v55
	v_mov_b32_e32 v55, v9
	v_add_f32_e32 v70, v10, v3
	v_fma_f32 v3, v8, s15, -v9
	v_add_f32_e32 v72, v11, v12
	v_sub_f32_e32 v74, v11, v12
	v_mul_f32_e32 v7, 0xbe750f2a, v66
	v_add_f32_e32 v65, v65, v71
	v_fmac_f32_e32 v60, 0x3f62ad3f, v8
	v_fmac_f32_e32 v55, 0xbeb58ec6, v8
	v_add_f32_e32 v71, v3, v4
	v_fma_f32 v3, v72, s17, -v7
	v_mul_f32_e32 v8, 0xbe750f2a, v74
	v_fmac_f32_e32 v7, 0xbf788fa5, v72
	v_add_f32_e32 v64, v7, v13
	v_fma_f32 v7, v73, s17, -v8
	v_mul_f32_e32 v9, 0x3eedf032, v66
	v_add_f32_e32 v62, v62, v65
	v_add_f32_e32 v65, v7, v15
	v_fma_f32 v7, v72, s14, -v9
	v_mul_f32_e32 v10, 0x3eedf032, v74
	v_fmac_f32_e32 v9, 0x3f62ad3f, v72
	v_add_f32_e32 v69, v60, v62
	v_add_f32_e32 v62, v9, v40
	v_fma_f32 v9, v73, s14, -v10
	v_mul_f32_e32 v11, 0xbf29c268, v66
	v_add_f32_e32 v63, v9, v42
	v_fma_f32 v9, v72, s16, -v11
	v_mul_f32_e32 v12, 0xbf29c268, v74
	v_fmac_f32_e32 v11, 0xbf3f9e67, v72
	v_mov_b32_e32 v4, v8
	v_mov_b32_e32 v8, v10
	v_mov_b32_e32 v10, v12
	v_add_f32_e32 v60, v11, v43
	v_fma_f32 v11, v73, s16, -v12
	v_mul_f32_e32 v13, 0x3f52af12, v66
	v_add_f32_e32 v55, v55, v61
	v_add_f32_e32 v3, v3, v14
	v_fmac_f32_e32 v10, 0xbf3f9e67, v73
	v_add_f32_e32 v61, v11, v45
	v_fma_f32 v11, v72, s3, -v13
	v_mul_f32_e32 v14, 0x3f52af12, v74
	v_fmac_f32_e32 v13, 0x3f116cb1, v72
	v_add_f32_e32 v10, v10, v58
	v_add_f32_e32 v58, v13, v46
	v_fma_f32 v13, v73, s3, -v14
	v_mul_f32_e32 v15, 0xbf6f5d39, v66
	v_add_f32_e32 v54, v54, v59
	v_add_f32_e32 v7, v7, v41
	;; [unrolled: 1-line block ×3, first 2 shown]
	v_fma_f32 v13, v72, s15, -v15
	v_mul_f32_e32 v41, 0xbf6f5d39, v74
	v_fmac_f32_e32 v15, 0xbeb58ec6, v72
	v_add_f32_e32 v40, v15, v50
	v_fma_f32 v15, v73, s15, -v41
	v_mov_b32_e32 v12, v14
	v_mov_b32_e32 v14, v41
	v_add_f32_e32 v41, v15, v53
	v_mul_f32_e32 v15, 0x3f7e222b, v66
	v_mul_f32_e32 v45, 0x3f7e222b, v74
	v_fmac_f32_e32 v4, 0xbf788fa5, v73
	v_fma_f32 v42, v72, s2, -v15
	v_mov_b32_e32 v43, v45
	v_fmac_f32_e32 v15, 0x3df6dbef, v72
	v_add_f32_e32 v4, v4, v48
	v_fmac_f32_e32 v8, 0x3f62ad3f, v73
	v_add_f32_e32 v9, v9, v44
	v_fmac_f32_e32 v12, 0x3f116cb1, v73
	v_fmac_f32_e32 v14, 0xbeb58ec6, v73
	;; [unrolled: 1-line block ×3, first 2 shown]
	v_add_f32_e32 v44, v15, v70
	v_fma_f32 v15, v73, s2, -v45
	v_add_f32_e32 v8, v8, v52
	v_add_f32_e32 v11, v11, v47
	;; [unrolled: 1-line block ×8, first 2 shown]
	ds_write2_b64 v107, v[5:6], v[3:4] offset1:17
	ds_write2_b64 v107, v[7:8], v[9:10] offset0:34 offset1:51
	ds_write2_b64 v107, v[11:12], v[13:14] offset0:68 offset1:85
	;; [unrolled: 1-line block ×5, first 2 shown]
	ds_write_b64 v107, v[64:65] offset:1632
	s_waitcnt lgkmcnt(0)
	s_barrier
	ds_read2_b64 v[66:69], v105 offset1:221
	ds_read2_b64 v[70:73], v97 offset0:26 offset1:247
	ds_read2_b64 v[74:77], v96 offset0:20 offset1:241
	;; [unrolled: 1-line block ×3, first 2 shown]
	ds_read_b64 v[90:91], v105 offset:14144
	s_movk_i32 s2, 0x44
	v_cmp_gt_u16_e64 s[2:3], s2, v197
	s_and_saveexec_b64 s[14:15], s[2:3]
	s_cbranch_execz .LBB0_9
; %bb.8:
	v_add_u32_e32 v1, 0x400, v105
	ds_read2_b64 v[58:61], v1 offset0:25 offset1:246
	v_add_u32_e32 v1, 0x2000, v105
	ds_read2_b64 v[1:4], v1 offset0:13 offset1:234
	;; [unrolled: 2-line block ×3, first 2 shown]
	ds_read2_b64 v[62:65], v5 offset0:19 offset1:240
	ds_read_b64 v[88:89], v105 offset:15368
	s_waitcnt lgkmcnt(2)
	v_mov_b32_e32 v82, v54
	v_mov_b32_e32 v84, v3
	;; [unrolled: 1-line block ×6, first 2 shown]
.LBB0_9:
	s_or_b64 exec, exec, s[14:15]
	v_lshlrev_b32_e32 v0, 6, v197
	s_movk_i32 s14, 0x99
	global_load_dwordx4 v[52:55], v0, s[12:13] offset:1632
	global_load_dwordx4 v[48:51], v0, s[12:13] offset:1648
	global_load_dwordx4 v[44:47], v0, s[12:13] offset:1664
	global_load_dwordx4 v[40:43], v0, s[12:13] offset:1680
	s_movk_i32 s16, 0xffbc
	v_add_co_u32_e32 v0, vcc, s14, v197
	v_addc_co_u32_e64 v1, s[14:15], 0, 0, vcc
	v_add_co_u32_e32 v3, vcc, s16, v197
	v_addc_co_u32_e64 v4, s[14:15], 0, -1, vcc
	v_cndmask_b32_e64 v1, v4, v1, s[2:3]
	v_cndmask_b32_e64 v0, v3, v0, s[2:3]
	v_lshlrev_b64 v[0:1], 6, v[0:1]
	v_mov_b32_e32 v2, s13
	v_add_co_u32_e32 v93, vcc, s12, v0
	v_addc_co_u32_e32 v94, vcc, v2, v1, vcc
	global_load_dwordx4 v[0:3], v[93:94], off offset:1632
	global_load_dwordx4 v[8:11], v[93:94], off offset:1648
	;; [unrolled: 1-line block ×4, first 2 shown]
	s_mov_b32 s12, 0xbf248dbb
	s_waitcnt vmcnt(7) lgkmcnt(4)
	v_mul_f32_e32 v93, v69, v53
	v_mul_f32_e32 v94, v68, v53
	s_waitcnt lgkmcnt(3)
	v_mul_f32_e32 v98, v71, v55
	v_mul_f32_e32 v99, v70, v55
	s_waitcnt vmcnt(6)
	v_mul_f32_e32 v100, v73, v49
	v_mul_f32_e32 v101, v72, v49
	s_waitcnt lgkmcnt(2)
	v_mul_f32_e32 v102, v75, v51
	v_mul_f32_e32 v103, v74, v51
	s_waitcnt vmcnt(5)
	;; [unrolled: 6-line block ×3, first 2 shown]
	v_mul_f32_e32 v111, v81, v41
	v_mul_f32_e32 v112, v80, v41
	s_waitcnt lgkmcnt(0)
	v_mul_f32_e32 v113, v91, v43
	v_mul_f32_e32 v114, v90, v43
	v_fma_f32 v68, v68, v52, -v93
	v_fmac_f32_e32 v94, v69, v52
	v_fma_f32 v69, v70, v54, -v98
	v_fmac_f32_e32 v99, v71, v54
	;; [unrolled: 2-line block ×8, first 2 shown]
	s_waitcnt vmcnt(3)
	v_mul_f32_e32 v74, v61, v1
	s_waitcnt vmcnt(2)
	v_mul_f32_e32 v77, v65, v9
	v_mul_f32_e32 v98, v86, v11
	s_waitcnt vmcnt(1)
	v_mul_f32_e32 v79, v85, v13
	v_mul_f32_e32 v91, v83, v15
	;; [unrolled: 1-line block ×3, first 2 shown]
	s_waitcnt vmcnt(0)
	v_mul_f32_e32 v104, v57, v5
	v_mul_f32_e32 v109, v56, v5
	;; [unrolled: 1-line block ×6, first 2 shown]
	v_fma_f32 v113, v60, v0, -v74
	v_fma_f32 v116, v64, v8, -v77
	v_fmac_f32_e32 v98, v87, v10
	v_fma_f32 v87, v84, v12, -v79
	v_fma_f32 v82, v82, v14, -v91
	v_fmac_f32_e32 v100, v83, v14
	v_fma_f32 v56, v56, v4, -v104
	v_fmac_f32_e32 v109, v57, v4
	v_fma_f32 v57, v88, v6, -v111
	v_mul_f32_e32 v83, v88, v7
	v_add_f32_e32 v77, v68, v73
	v_add_f32_e32 v84, v99, v112
	;; [unrolled: 1-line block ×3, first 2 shown]
	v_sub_f32_e32 v60, v68, v73
	v_sub_f32_e32 v91, v99, v112
	;; [unrolled: 1-line block ×4, first 2 shown]
	v_add_f32_e32 v110, v93, v76
	v_mov_b32_e32 v68, v66
	v_fmac_f32_e32 v80, v61, v0
	v_fma_f32 v86, v86, v10, -v78
	v_fmac_f32_e32 v102, v85, v12
	v_fmac_f32_e32 v83, v89, v6
	v_add_f32_e32 v78, v94, v114
	v_add_f32_e32 v79, v69, v72
	;; [unrolled: 1-line block ×3, first 2 shown]
	v_sub_f32_e32 v61, v94, v114
	v_sub_f32_e32 v89, v69, v72
	;; [unrolled: 1-line block ×4, first 2 shown]
	v_add_f32_e32 v111, v103, v108
	v_mul_f32_e32 v71, 0xbf248dbb, v104
	v_fmac_f32_e32 v68, 0x3f441b7d, v110
	v_mov_b32_e32 v69, v67
	v_mul_f32_e32 v70, 0xbf248dbb, v101
	v_fmac_f32_e32 v71, 0x3f7c1c5c, v61
	v_fmac_f32_e32 v69, 0x3f441b7d, v111
	;; [unrolled: 1-line block ×3, first 2 shown]
	v_mul_f32_e32 v90, v64, v9
	v_mul_f32_e32 v64, 0x3f248dbb, v61
	v_fmac_f32_e32 v70, 0x3f7c1c5c, v60
	v_fmac_f32_e32 v71, 0xbf5db3d7, v99
	;; [unrolled: 1-line block ×3, first 2 shown]
	v_fmac_f32_e32 v68, -0.5, v85
	v_fmac_f32_e32 v90, v65, v8
	v_mul_f32_e32 v65, 0x3f248dbb, v60
	v_fmac_f32_e32 v64, 0x3f7c1c5c, v91
	v_fmac_f32_e32 v70, 0xbf5db3d7, v94
	;; [unrolled: 1-line block ×3, first 2 shown]
	v_fmac_f32_e32 v69, -0.5, v88
	v_fmac_f32_e32 v68, 0xbf708fb2, v79
	v_fmac_f32_e32 v65, 0x3f7c1c5c, v89
	;; [unrolled: 1-line block ×5, first 2 shown]
	v_add_f32_e32 v68, v71, v68
	v_mul_f32_e32 v75, v63, v3
	v_fmac_f32_e32 v65, 0x3f5db3d7, v94
	v_fmac_f32_e32 v64, 0x3eaf1d44, v104
	v_sub_f32_e32 v69, v69, v70
	v_fma_f32 v74, -2.0, v71, v68
	v_add_f32_e32 v71, v104, v61
	v_mul_f32_e32 v104, 0x3f7c1c5c, v104
	v_fma_f32 v115, v62, v2, -v75
	v_fmac_f32_e32 v65, 0x3eaf1d44, v101
	v_fma_f32 v75, 2.0, v70, v69
	v_add_f32_e32 v70, v101, v60
	v_sub_f32_e32 v73, v71, v91
	v_mul_f32_e32 v101, 0x3f7c1c5c, v101
	v_fma_f32 v91, v91, s12, -v104
	v_sub_f32_e32 v72, v70, v89
	v_add_f32_e32 v118, v84, v78
	v_fma_f32 v89, v89, s12, -v101
	v_fmac_f32_e32 v91, 0x3f5db3d7, v99
	v_add_f32_e32 v117, v79, v77
	v_fmac_f32_e32 v89, 0x3f5db3d7, v94
	v_fmac_f32_e32 v91, 0x3eaf1d44, v61
	v_add_f32_e32 v61, v88, v118
	v_fmac_f32_e32 v89, 0x3eaf1d44, v60
	v_add_f32_e32 v60, v85, v117
	v_add_f32_e32 v61, v103, v61
	v_mul_f32_e32 v81, v62, v3
	v_add_f32_e32 v60, v93, v60
	v_add_f32_e32 v61, v108, v61
	v_fmac_f32_e32 v81, v63, v2
	v_mov_b32_e32 v63, v67
	v_add_f32_e32 v71, v88, v67
	v_add_f32_e32 v60, v76, v60
	;; [unrolled: 1-line block ×3, first 2 shown]
	v_fmac_f32_e32 v67, 0x3f441b7d, v84
	v_mov_b32_e32 v62, v66
	v_add_f32_e32 v70, v85, v66
	v_add_f32_e32 v60, v60, v66
	v_fmac_f32_e32 v66, 0x3f441b7d, v79
	v_fmac_f32_e32 v67, 0x3e31d0d4, v111
	;; [unrolled: 1-line block ×3, first 2 shown]
	v_fmac_f32_e32 v67, -0.5, v88
	v_fmac_f32_e32 v63, 0x3f441b7d, v78
	v_fmac_f32_e32 v66, -0.5, v85
	v_fmac_f32_e32 v67, 0xbf708fb2, v78
	v_fmac_f32_e32 v62, 0x3f441b7d, v77
	;; [unrolled: 1-line block ×4, first 2 shown]
	v_sub_f32_e32 v77, v67, v89
	v_fmac_f32_e32 v62, 0x3e31d0d4, v79
	v_fmac_f32_e32 v63, -0.5, v88
	v_add_f32_e32 v119, v110, v117
	v_add_f32_e32 v120, v111, v118
	;; [unrolled: 1-line block ×3, first 2 shown]
	v_fma_f32 v79, 2.0, v89, v77
	v_add_f32_e32 v88, v113, v57
	v_add_f32_e32 v89, v80, v83
	;; [unrolled: 1-line block ×3, first 2 shown]
	v_sub_f32_e32 v57, v113, v57
	v_sub_f32_e32 v66, v80, v83
	;; [unrolled: 1-line block ×3, first 2 shown]
	v_mov_b32_e32 v80, v58
	v_mov_b32_e32 v81, v59
	v_fmac_f32_e32 v62, -0.5, v85
	v_fmac_f32_e32 v70, -0.5, v119
	;; [unrolled: 1-line block ×3, first 2 shown]
	v_add_f32_e32 v101, v115, v56
	v_add_f32_e32 v104, v116, v82
	v_sub_f32_e32 v56, v115, v56
	v_sub_f32_e32 v109, v116, v82
	v_mul_f32_e32 v82, 0x3f248dbb, v57
	v_mul_f32_e32 v83, 0x3f248dbb, v66
	v_fmac_f32_e32 v80, 0x3f441b7d, v88
	v_fmac_f32_e32 v81, 0x3f441b7d, v89
	;; [unrolled: 1-line block ×3, first 2 shown]
	v_mul_f32_e32 v112, 0x3f5db3d7, v72
	v_mul_f32_e32 v114, 0x3f5db3d7, v73
	v_fmac_f32_e32 v70, 0x3f5db3d7, v73
	v_fmac_f32_e32 v71, 0xbf5db3d7, v72
	v_add_f32_e32 v108, v90, v100
	v_sub_f32_e32 v110, v90, v100
	v_fmac_f32_e32 v82, 0x3f7c1c5c, v56
	v_fmac_f32_e32 v83, 0x3f7c1c5c, v67
	;; [unrolled: 1-line block ×5, first 2 shown]
	v_fma_f32 v72, -2.0, v114, v70
	v_fma_f32 v73, 2.0, v112, v71
	v_fmac_f32_e32 v82, 0x3f5db3d7, v109
	v_fmac_f32_e32 v83, 0x3f5db3d7, v110
	v_sub_f32_e32 v111, v86, v87
	v_sub_f32_e32 v112, v98, v102
	v_fmac_f32_e32 v80, -0.5, v104
	v_fmac_f32_e32 v81, -0.5, v108
	v_add_f32_e32 v113, v86, v87
	v_add_f32_e32 v114, v98, v102
	v_fmac_f32_e32 v82, 0x3eaf1d44, v111
	v_fmac_f32_e32 v83, 0x3eaf1d44, v112
	;; [unrolled: 1-line block ×4, first 2 shown]
	v_add_f32_e32 v80, v83, v80
	v_sub_f32_e32 v81, v81, v82
	v_fma_f32 v93, -2.0, v83, v80
	v_fma_f32 v94, 2.0, v82, v81
	v_mov_b32_e32 v82, v58
	v_mov_b32_e32 v83, v59
	v_mul_f32_e32 v84, 0xbf248dbb, v111
	v_mul_f32_e32 v85, 0xbf248dbb, v112
	v_fmac_f32_e32 v82, 0x3f441b7d, v113
	v_fmac_f32_e32 v83, 0x3f441b7d, v114
	;; [unrolled: 1-line block ×8, first 2 shown]
	v_fmac_f32_e32 v82, -0.5, v104
	v_fmac_f32_e32 v83, -0.5, v108
	v_fmac_f32_e32 v84, 0x3eaf1d44, v56
	v_fmac_f32_e32 v85, 0x3eaf1d44, v67
	;; [unrolled: 1-line block ×4, first 2 shown]
	v_add_f32_e32 v82, v85, v82
	v_sub_f32_e32 v83, v83, v84
	v_fma_f32 v99, -2.0, v85, v82
	v_fma_f32 v100, 2.0, v84, v83
	v_add_f32_e32 v84, v111, v57
	v_add_f32_e32 v85, v112, v66
	v_mul_f32_e32 v111, 0x3f7c1c5c, v111
	v_mul_f32_e32 v112, 0x3f7c1c5c, v112
	v_sub_f32_e32 v90, v84, v56
	v_fma_f32 v56, v56, s12, -v111
	v_fma_f32 v111, v67, s12, -v112
	v_add_f32_e32 v117, v101, v88
	v_add_f32_e32 v118, v103, v89
	v_fmac_f32_e32 v56, 0x3f5db3d7, v109
	v_fmac_f32_e32 v111, 0x3f5db3d7, v110
	;; [unrolled: 1-line block ×4, first 2 shown]
	v_add_f32_e32 v57, v104, v117
	v_add_f32_e32 v66, v108, v118
	;; [unrolled: 1-line block ×4, first 2 shown]
	v_fma_f32 v78, -2.0, v91, v76
	v_sub_f32_e32 v91, v85, v67
	v_add_f32_e32 v57, v87, v57
	v_add_f32_e32 v67, v102, v66
	;; [unrolled: 1-line block ×6, first 2 shown]
	v_fmac_f32_e32 v58, 0x3f441b7d, v101
	v_fmac_f32_e32 v59, 0x3f441b7d, v103
	;; [unrolled: 1-line block ×4, first 2 shown]
	v_add_f32_e32 v119, v113, v117
	v_add_f32_e32 v120, v114, v118
	v_fmac_f32_e32 v58, -0.5, v104
	v_fmac_f32_e32 v59, -0.5, v108
	;; [unrolled: 1-line block ×4, first 2 shown]
	v_fmac_f32_e32 v58, 0xbf708fb2, v88
	v_fmac_f32_e32 v59, 0xbf708fb2, v89
	v_add_f32_e32 v62, v64, v62
	v_sub_f32_e32 v63, v63, v65
	v_mul_f32_e32 v115, 0x3f5db3d7, v90
	v_mul_f32_e32 v116, 0x3f5db3d7, v91
	v_fmac_f32_e32 v84, 0x3f5db3d7, v91
	v_fmac_f32_e32 v85, 0xbf5db3d7, v90
	v_add_f32_e32 v86, v111, v58
	v_sub_f32_e32 v87, v59, v56
	v_fma_f32 v64, -2.0, v64, v62
	v_fma_f32 v65, 2.0, v65, v63
	v_fma_f32 v90, -2.0, v116, v84
	v_fma_f32 v91, 2.0, v115, v85
	v_fma_f32 v88, -2.0, v111, v86
	v_fma_f32 v89, 2.0, v56, v87
	ds_write2_b64 v105, v[60:61], v[62:63] offset1:221
	ds_write2_b64 v97, v[68:69], v[70:71] offset0:26 offset1:247
	ds_write2_b64 v96, v[76:77], v[78:79] offset0:20 offset1:241
	;; [unrolled: 1-line block ×3, first 2 shown]
	ds_write_b64 v105, v[64:65] offset:14144
	s_and_saveexec_b64 s[12:13], s[2:3]
	s_cbranch_execz .LBB0_11
; %bb.10:
	v_add_u32_e32 v56, 0x400, v105
	ds_write2_b64 v56, v[66:67], v[80:81] offset0:25 offset1:246
	v_add_u32_e32 v56, 0x1200, v105
	ds_write2_b64 v56, v[82:83], v[84:85] offset0:19 offset1:240
	;; [unrolled: 2-line block ×4, first 2 shown]
	ds_write_b64 v105, v[93:94] offset:15368
.LBB0_11:
	s_or_b64 exec, exec, s[12:13]
	s_waitcnt lgkmcnt(0)
	s_barrier
	s_and_saveexec_b64 s[12:13], s[0:1]
	s_cbranch_execz .LBB0_13
; %bb.12:
	v_mov_b32_e32 v56, s9
	v_add_co_u32_e32 v97, vcc, s8, v105
	v_addc_co_u32_e32 v98, vcc, 0, v56, vcc
	v_add_co_u32_e32 v56, vcc, 0x3e28, v97
	v_addc_co_u32_e32 v57, vcc, 0, v98, vcc
	;; [unrolled: 2-line block ×3, first 2 shown]
	global_load_dwordx2 v[95:96], v[58:59], off offset:3624
	global_load_dwordx2 v[116:117], v[56:57], off offset:936
	;; [unrolled: 1-line block ×5, first 2 shown]
	s_movk_i32 s14, 0x5000
	v_add_co_u32_e32 v56, vcc, s14, v97
	v_addc_co_u32_e32 v57, vcc, 0, v98, vcc
	global_load_dwordx2 v[124:125], v[56:57], off offset:112
	global_load_dwordx2 v[126:127], v[56:57], off offset:1048
	;; [unrolled: 1-line block ×5, first 2 shown]
	s_movk_i32 s14, 0x6000
	v_add_co_u32_e32 v56, vcc, s14, v97
	v_addc_co_u32_e32 v57, vcc, 0, v98, vcc
	global_load_dwordx2 v[134:135], v[56:57], off offset:696
	global_load_dwordx2 v[136:137], v[56:57], off offset:1632
	;; [unrolled: 1-line block ×4, first 2 shown]
	s_movk_i32 s14, 0x7000
	v_add_co_u32_e32 v56, vcc, s14, v97
	v_addc_co_u32_e32 v57, vcc, 0, v98, vcc
	global_load_dwordx2 v[142:143], v[56:57], off offset:344
	ds_read_b64 v[58:59], v105
	global_load_dwordx2 v[144:145], v[56:57], off offset:1280
	global_load_dwordx2 v[146:147], v[56:57], off offset:2216
	v_add_u32_e32 v150, 0x800, v105
	v_add_u32_e32 v151, 0x1000, v105
	;; [unrolled: 1-line block ×4, first 2 shown]
	s_waitcnt vmcnt(16) lgkmcnt(0)
	v_mul_f32_e32 v56, v59, v96
	v_mul_f32_e32 v57, v58, v96
	v_fma_f32 v56, v58, v95, -v56
	v_fmac_f32_e32 v57, v59, v95
	ds_write_b64 v105, v[56:57]
	ds_read2_b64 v[56:59], v105 offset0:117 offset1:234
	ds_read2_b64 v[95:98], v150 offset0:95 offset1:212
	;; [unrolled: 1-line block ×5, first 2 shown]
	s_waitcnt vmcnt(15) lgkmcnt(4)
	v_mul_f32_e32 v149, v56, v117
	v_mul_f32_e32 v148, v57, v117
	s_waitcnt vmcnt(14)
	v_mul_f32_e32 v154, v59, v119
	v_mul_f32_e32 v117, v58, v119
	s_waitcnt vmcnt(13) lgkmcnt(3)
	v_mul_f32_e32 v155, v96, v121
	v_mul_f32_e32 v119, v95, v121
	s_waitcnt vmcnt(12)
	v_mul_f32_e32 v156, v98, v123
	v_mul_f32_e32 v121, v97, v123
	;; [unrolled: 6-line block ×3, first 2 shown]
	s_waitcnt vmcnt(9) lgkmcnt(1)
	v_mul_f32_e32 v159, v109, v129
	v_mul_f32_e32 v127, v108, v129
	s_waitcnt vmcnt(8)
	v_mul_f32_e32 v129, v111, v131
	v_fmac_f32_e32 v149, v57, v116
	v_mul_f32_e32 v57, v110, v131
	v_fma_f32 v148, v56, v116, -v148
	v_fma_f32 v116, v58, v118, -v154
	v_fmac_f32_e32 v117, v59, v118
	v_fma_f32 v118, v95, v120, -v155
	v_fmac_f32_e32 v119, v96, v120
	;; [unrolled: 2-line block ×7, first 2 shown]
	ds_write2_b64 v105, v[148:149], v[116:117] offset0:117 offset1:234
	ds_write2_b64 v150, v[118:119], v[120:121] offset0:95 offset1:212
	;; [unrolled: 1-line block ×4, first 2 shown]
	s_waitcnt vmcnt(7) lgkmcnt(4)
	v_mul_f32_e32 v56, v113, v133
	v_add_u32_e32 v103, 0x2800, v105
	v_fma_f32 v95, v112, v132, -v56
	ds_read2_b64 v[56:59], v103 offset0:7 offset1:124
	v_mul_f32_e32 v96, v112, v133
	s_waitcnt vmcnt(6)
	v_mul_f32_e32 v97, v115, v135
	v_mul_f32_e32 v98, v114, v135
	v_fmac_f32_e32 v96, v113, v132
	v_fma_f32 v97, v114, v134, -v97
	v_fmac_f32_e32 v98, v115, v134
	ds_write2_b64 v153, v[95:96], v[97:98] offset0:29 offset1:146
	s_waitcnt vmcnt(5) lgkmcnt(1)
	v_mul_f32_e32 v95, v57, v137
	v_add_u32_e32 v104, 0x2c00, v105
	v_fma_f32 v101, v56, v136, -v95
	ds_read2_b64 v[95:98], v104 offset0:113 offset1:230
	v_mul_f32_e32 v102, v56, v137
	v_fmac_f32_e32 v102, v57, v136
	s_waitcnt vmcnt(4)
	v_mul_f32_e32 v56, v59, v139
	v_mul_f32_e32 v57, v58, v139
	v_fma_f32 v56, v58, v138, -v56
	v_fmac_f32_e32 v57, v59, v138
	ds_write2_b64 v103, v[101:102], v[56:57] offset0:7 offset1:124
	s_waitcnt vmcnt(3) lgkmcnt(1)
	v_mul_f32_e32 v56, v96, v141
	v_add_u32_e32 v103, 0x3400, v105
	v_fma_f32 v101, v95, v140, -v56
	ds_read2_b64 v[56:59], v103 offset0:91 offset1:208
	v_mul_f32_e32 v102, v95, v141
	v_fmac_f32_e32 v102, v96, v140
	s_waitcnt vmcnt(2)
	v_mul_f32_e32 v95, v98, v143
	v_mul_f32_e32 v96, v97, v143
	v_fma_f32 v95, v97, v142, -v95
	v_fmac_f32_e32 v96, v98, v142
	ds_write2_b64 v104, v[101:102], v[95:96] offset0:113 offset1:230
	s_waitcnt vmcnt(1) lgkmcnt(1)
	v_mul_f32_e32 v95, v57, v145
	v_mul_f32_e32 v96, v56, v145
	v_fma_f32 v95, v56, v144, -v95
	v_fmac_f32_e32 v96, v57, v144
	s_waitcnt vmcnt(0)
	v_mul_f32_e32 v56, v59, v147
	v_mul_f32_e32 v57, v58, v147
	v_fma_f32 v56, v58, v146, -v56
	v_fmac_f32_e32 v57, v59, v146
	ds_write2_b64 v103, v[95:96], v[56:57] offset0:91 offset1:208
.LBB0_13:
	s_or_b64 exec, exec, s[12:13]
	s_waitcnt lgkmcnt(0)
	s_barrier
	s_and_saveexec_b64 s[12:13], s[0:1]
	s_cbranch_execz .LBB0_15
; %bb.14:
	v_add_u32_e32 v56, 0x400, v105
	ds_read2_b64 v[68:71], v56 offset0:106 offset1:223
	v_add_u32_e32 v56, 0xc00, v105
	ds_read2_b64 v[76:79], v56 offset0:84 offset1:201
	;; [unrolled: 2-line block ×6, first 2 shown]
	v_add_u32_e32 v56, 0x3000, v105
	ds_read2_b64 v[60:63], v105 offset1:117
	ds_read2_b64 v[88:91], v56 offset0:102 offset1:219
	ds_read_b64 v[99:100], v105 offset:14976
.LBB0_15:
	s_or_b64 exec, exec, s[12:13]
	s_waitcnt lgkmcnt(0)
	v_sub_f32_e32 v203, v63, v100
	v_add_f32_e32 v128, v99, v62
	v_add_f32_e32 v133, v100, v63
	s_mov_b32 s14, 0x3f6eb680
	v_mul_f32_e32 v92, 0xbeb8f4ab, v203
	v_sub_f32_e32 v216, v69, v91
	v_mul_f32_e32 v103, 0x3f6eb680, v133
	v_fma_f32 v56, v128, s14, -v92
	s_mov_b32 s15, 0x3f3d2fb0
	v_add_f32_e32 v138, v90, v68
	v_add_f32_e32 v143, v91, v69
	v_mul_f32_e32 v104, 0xbf2c7751, v216
	v_sub_f32_e32 v215, v62, v99
	v_add_f32_e32 v56, v60, v56
	v_mov_b32_e32 v57, v103
	v_mul_f32_e32 v108, 0x3f3d2fb0, v143
	v_fma_f32 v101, v138, s15, -v104
	v_fmac_f32_e32 v57, 0xbeb8f4ab, v215
	v_mul_f32_e32 v106, 0xbf2c7751, v203
	v_sub_f32_e32 v218, v68, v90
	v_add_f32_e32 v56, v101, v56
	v_mov_b32_e32 v101, v108
	v_add_f32_e32 v57, v61, v57
	v_mul_f32_e32 v109, 0x3f3d2fb0, v133
	v_fma_f32 v58, v128, s15, -v106
	s_mov_b32 s17, 0x3dbcf732
	v_fmac_f32_e32 v101, 0xbf2c7751, v218
	v_mul_f32_e32 v111, 0xbf7ee86f, v216
	v_add_f32_e32 v58, v60, v58
	v_mov_b32_e32 v59, v109
	v_add_f32_e32 v57, v101, v57
	v_mul_f32_e32 v122, 0x3dbcf732, v143
	v_fma_f32 v101, v138, s17, -v111
	v_fmac_f32_e32 v59, 0xbf2c7751, v215
	s_mov_b32 s16, 0x3ee437d1
	v_mul_f32_e32 v112, 0xbf65296c, v203
	v_add_f32_e32 v58, v101, v58
	v_mov_b32_e32 v101, v122
	v_add_f32_e32 v59, v61, v59
	v_mul_f32_e32 v116, 0x3ee437d1, v133
	v_fma_f32 v95, v128, s16, -v112
	v_fmac_f32_e32 v101, 0xbf7ee86f, v218
	s_mov_b32 s18, 0xbf1a4643
	v_mul_f32_e32 v118, 0xbf4c4adb, v216
	v_add_f32_e32 v95, v60, v95
	v_mov_b32_e32 v96, v116
	v_add_f32_e32 v59, v101, v59
	v_mul_f32_e32 v127, 0xbf1a4643, v143
	v_fma_f32 v101, v138, s18, -v118
	v_fmac_f32_e32 v96, 0xbf65296c, v215
	v_mul_f32_e32 v120, 0xbf7ee86f, v203
	v_add_f32_e32 v95, v101, v95
	v_mov_b32_e32 v101, v127
	v_add_f32_e32 v96, v61, v96
	v_mul_f32_e32 v130, 0x3dbcf732, v133
	v_fma_f32 v97, v128, s17, -v120
	v_fmac_f32_e32 v101, 0xbf4c4adb, v218
	s_mov_b32 s19, 0xbf7ba420
	v_mul_f32_e32 v134, 0xbe3c28d5, v216
	v_add_f32_e32 v97, v60, v97
	v_mov_b32_e32 v98, v130
	v_add_f32_e32 v96, v101, v96
	v_mul_f32_e32 v140, 0xbf7ba420, v143
	v_fma_f32 v101, v138, s19, -v134
	v_fmac_f32_e32 v98, 0xbf7ee86f, v215
	v_add_f32_e32 v97, v101, v97
	v_mov_b32_e32 v101, v140
	v_sub_f32_e32 v219, v71, v89
	v_add_f32_e32 v98, v61, v98
	v_fmac_f32_e32 v101, 0xbe3c28d5, v218
	v_add_f32_e32 v148, v88, v70
	v_add_f32_e32 v155, v89, v71
	v_mul_f32_e32 v110, 0xbf65296c, v219
	v_add_f32_e32 v98, v101, v98
	v_mul_f32_e32 v113, 0x3ee437d1, v155
	v_fma_f32 v101, v148, s16, -v110
	v_sub_f32_e32 v220, v70, v88
	v_add_f32_e32 v56, v101, v56
	v_mov_b32_e32 v101, v113
	v_fmac_f32_e32 v101, 0xbf65296c, v220
	v_mul_f32_e32 v117, 0xbf4c4adb, v219
	v_add_f32_e32 v57, v101, v57
	v_mul_f32_e32 v125, 0xbf1a4643, v155
	v_fma_f32 v101, v148, s18, -v117
	v_add_f32_e32 v58, v101, v58
	v_mov_b32_e32 v101, v125
	v_fmac_f32_e32 v101, 0xbf4c4adb, v220
	v_mul_f32_e32 v131, 0x3e3c28d5, v219
	v_add_f32_e32 v59, v101, v59
	v_mul_f32_e32 v137, 0xbf7ba420, v155
	v_fma_f32 v101, v148, s19, -v131
	v_add_f32_e32 v95, v101, v95
	v_mov_b32_e32 v101, v137
	v_fmac_f32_e32 v101, 0x3e3c28d5, v220
	s_mov_b32 s20, 0xbe8c1d8e
	v_mul_f32_e32 v144, 0x3f763a35, v219
	v_add_f32_e32 v96, v101, v96
	v_mul_f32_e32 v150, 0xbe8c1d8e, v155
	v_fma_f32 v101, v148, s20, -v144
	v_add_f32_e32 v97, v101, v97
	v_mov_b32_e32 v101, v150
	v_sub_f32_e32 v221, v77, v87
	v_fmac_f32_e32 v101, 0x3f763a35, v220
	v_add_f32_e32 v158, v86, v76
	v_add_f32_e32 v165, v87, v77
	v_mul_f32_e32 v124, 0xbf7ee86f, v221
	v_add_f32_e32 v98, v101, v98
	v_mul_f32_e32 v119, 0x3dbcf732, v165
	v_fma_f32 v101, v158, s17, -v124
	v_sub_f32_e32 v222, v76, v86
	v_add_f32_e32 v56, v101, v56
	v_mov_b32_e32 v101, v119
	v_fmac_f32_e32 v101, 0xbf7ee86f, v222
	v_mul_f32_e32 v129, 0xbe3c28d5, v221
	v_add_f32_e32 v57, v101, v57
	v_mul_f32_e32 v135, 0xbf7ba420, v165
	v_fma_f32 v101, v158, s19, -v129
	v_add_f32_e32 v58, v101, v58
	v_mov_b32_e32 v101, v135
	v_fmac_f32_e32 v101, 0xbe3c28d5, v222
	v_mul_f32_e32 v141, 0x3f763a35, v221
	v_add_f32_e32 v59, v101, v59
	v_mul_f32_e32 v147, 0xbe8c1d8e, v165
	v_fma_f32 v101, v158, s20, -v141
	v_add_f32_e32 v95, v101, v95
	v_mov_b32_e32 v101, v147
	v_fmac_f32_e32 v101, 0x3f763a35, v222
	v_mul_f32_e32 v153, 0x3eb8f4ab, v221
	v_add_f32_e32 v96, v101, v96
	v_mul_f32_e32 v160, 0x3f6eb680, v165
	v_fma_f32 v101, v158, s14, -v153
	v_add_f32_e32 v97, v101, v97
	v_mov_b32_e32 v101, v160
	v_sub_f32_e32 v223, v79, v85
	v_fmac_f32_e32 v101, 0x3eb8f4ab, v222
	v_add_f32_e32 v167, v84, v78
	v_add_f32_e32 v175, v85, v79
	v_mul_f32_e32 v126, 0xbf763a35, v223
	v_add_f32_e32 v98, v101, v98
	v_mul_f32_e32 v132, 0xbe8c1d8e, v175
	v_fma_f32 v101, v167, s20, -v126
	v_sub_f32_e32 v227, v78, v84
	v_add_f32_e32 v56, v101, v56
	v_mov_b32_e32 v101, v132
	v_fmac_f32_e32 v101, 0xbf763a35, v227
	s_mov_b32 s21, 0xbf59a7d5
	v_mul_f32_e32 v139, 0x3f06c442, v223
	v_add_f32_e32 v57, v101, v57
	v_mul_f32_e32 v145, 0xbf59a7d5, v175
	v_fma_f32 v101, v167, s21, -v139
	v_add_f32_e32 v58, v101, v58
	v_mov_b32_e32 v101, v145
	v_fmac_f32_e32 v101, 0x3f06c442, v227
	v_mul_f32_e32 v152, 0x3f2c7751, v223
	v_add_f32_e32 v59, v101, v59
	v_mul_f32_e32 v157, 0x3f3d2fb0, v175
	v_fma_f32 v101, v167, s15, -v152
	v_add_f32_e32 v95, v101, v95
	v_mov_b32_e32 v101, v157
	v_fmac_f32_e32 v101, 0x3f2c7751, v227
	v_mul_f32_e32 v164, 0xbf65296c, v223
	v_add_f32_e32 v96, v101, v96
	v_mul_f32_e32 v169, 0x3ee437d1, v175
	v_fma_f32 v101, v167, s16, -v164
	v_add_f32_e32 v97, v101, v97
	v_mov_b32_e32 v101, v169
	v_sub_f32_e32 v228, v73, v83
	v_fmac_f32_e32 v101, 0xbf65296c, v227
	v_add_f32_e32 v178, v82, v72
	v_add_f32_e32 v190, v83, v73
	v_mul_f32_e32 v136, 0xbf4c4adb, v228
	v_add_f32_e32 v98, v101, v98
	v_mul_f32_e32 v142, 0xbf1a4643, v190
	v_fma_f32 v101, v178, s18, -v136
	v_sub_f32_e32 v226, v72, v82
	v_add_f32_e32 v56, v101, v56
	v_mov_b32_e32 v101, v142
	v_fmac_f32_e32 v101, 0xbf4c4adb, v226
	v_mul_f32_e32 v149, 0x3f763a35, v228
	v_add_f32_e32 v57, v101, v57
	v_mul_f32_e32 v154, 0xbe8c1d8e, v190
	v_fma_f32 v101, v178, s20, -v149
	v_add_f32_e32 v58, v101, v58
	v_mov_b32_e32 v101, v154
	v_fmac_f32_e32 v101, 0x3f763a35, v226
	v_mul_f32_e32 v162, 0xbeb8f4ab, v228
	v_add_f32_e32 v59, v101, v59
	v_mul_f32_e32 v166, 0x3f6eb680, v190
	v_fma_f32 v101, v178, s14, -v162
	v_add_f32_e32 v95, v101, v95
	v_mov_b32_e32 v101, v166
	v_fmac_f32_e32 v101, 0xbeb8f4ab, v226
	v_mul_f32_e32 v174, 0xbf06c442, v228
	v_add_f32_e32 v96, v101, v96
	v_mul_f32_e32 v182, 0xbf59a7d5, v190
	v_fma_f32 v101, v178, s21, -v174
	v_add_f32_e32 v97, v101, v97
	v_mov_b32_e32 v101, v182
	v_sub_f32_e32 v229, v75, v81
	v_fmac_f32_e32 v101, 0xbf06c442, v226
	v_add_f32_e32 v193, v80, v74
	v_add_f32_e32 v207, v81, v75
	v_mul_f32_e32 v146, 0xbf06c442, v229
	v_add_f32_e32 v98, v101, v98
	v_mul_f32_e32 v151, 0xbf59a7d5, v207
	v_fma_f32 v101, v193, s21, -v146
	v_sub_f32_e32 v224, v74, v80
	v_add_f32_e32 v56, v101, v56
	v_mov_b32_e32 v101, v151
	v_fmac_f32_e32 v101, 0xbf06c442, v224
	;; [unrolled: 32-line block ×3, first 2 shown]
	v_mul_f32_e32 v168, 0x3eb8f4ab, v230
	v_add_f32_e32 v59, v56, v57
	v_fma_f32 v56, v209, s14, -v168
	v_mul_f32_e32 v184, 0xbf06c442, v230
	v_add_f32_e32 v56, v56, v101
	v_mul_f32_e32 v194, 0xbf59a7d5, v217
	v_fma_f32 v101, v209, s21, -v184
	v_add_f32_e32 v95, v101, v95
	v_mov_b32_e32 v101, v194
	v_fmac_f32_e32 v101, 0xbf06c442, v225
	v_mul_f32_e32 v205, 0x3f2c7751, v230
	v_mul_f32_e32 v172, 0x3f6eb680, v217
	v_add_f32_e32 v96, v101, v96
	v_mul_f32_e32 v213, 0x3f3d2fb0, v217
	v_fma_f32 v101, v209, s15, -v205
	v_mov_b32_e32 v57, v172
	v_add_f32_e32 v97, v101, v97
	v_mov_b32_e32 v101, v213
	v_fmac_f32_e32 v57, 0x3eb8f4ab, v225
	v_fmac_f32_e32 v101, 0x3f2c7751, v225
	v_add_f32_e32 v57, v57, v102
	v_add_f32_e32 v98, v101, v98
	s_barrier
	s_and_saveexec_b64 s[12:13], s[0:1]
	s_cbranch_execz .LBB0_17
; %bb.16:
	v_mul_f32_e32 v101, 0x3f6eb680, v128
	buffer_store_dword v101, off, s[24:27], 0 ; 4-byte Folded Spill
	v_mul_f32_e32 v101, 0xbeb8f4ab, v215
	buffer_store_dword v101, off, s[24:27], 0 offset:12 ; 4-byte Folded Spill
	v_mul_f32_e32 v101, 0x3f3d2fb0, v128
	buffer_store_dword v101, off, s[24:27], 0 offset:36 ; 4-byte Folded Spill
	;; [unrolled: 2-line block ×41, first 2 shown]
	v_mul_f32_e32 v101, 0xbe8c1d8e, v178
	v_mul_f32_e32 v249, 0xbf763a35, v215
	buffer_store_dword v101, off, s[24:27], 0 offset:88 ; 4-byte Folded Spill
	v_mov_b32_e32 v101, v249
	v_mul_f32_e32 v250, 0x3f06c442, v218
	v_fmac_f32_e32 v101, 0xbe8c1d8e, v133
	v_mov_b32_e32 v102, v250
	v_add_f32_e32 v101, v61, v101
	v_fmac_f32_e32 v102, 0xbf59a7d5, v143
	v_mul_f32_e32 v251, 0x3f2c7751, v220
	v_add_f32_e32 v101, v102, v101
	v_mov_b32_e32 v102, v251
	v_fmac_f32_e32 v102, 0x3f3d2fb0, v155
	v_mul_f32_e32 v252, 0xbf65296c, v222
	v_add_f32_e32 v101, v102, v101
	v_mov_b32_e32 v102, v252
	;; [unrolled: 4-line block ×5, first 2 shown]
	v_fmac_f32_e32 v102, 0x3f6eb680, v207
	buffer_store_dword v92, off, s[24:27], 0 offset:124 ; 4-byte Folded Spill
	v_mul_f32_e32 v92, 0xbf4c4adb, v225
	v_add_f32_e32 v101, v102, v101
	v_mov_b32_e32 v102, v92
	v_fmac_f32_e32 v102, 0xbf1a4643, v217
	buffer_store_dword v106, off, s[24:27], 0 offset:180 ; 4-byte Folded Spill
	v_mul_f32_e32 v106, 0xbf763a35, v203
	v_add_f32_e32 v102, v102, v101
	v_fma_f32 v101, v128, s20, -v106
	v_mul_f32_e32 v173, 0x3f06c442, v216
	v_add_f32_e32 v101, v60, v101
	buffer_store_dword v103, off, s[24:27], 0 offset:156 ; 4-byte Folded Spill
	v_fma_f32 v103, v138, s21, -v173
	v_mul_f32_e32 v176, 0x3f2c7751, v219
	v_add_f32_e32 v101, v103, v101
	v_fma_f32 v103, v148, s15, -v176
	v_mul_f32_e32 v185, 0xbf65296c, v221
	v_add_f32_e32 v101, v103, v101
	;; [unrolled: 3-line block ×7, first 2 shown]
	v_mov_b32_e32 v103, v186
	v_mul_f32_e32 v195, 0x3f763a35, v218
	buffer_store_dword v101, off, s[24:27], 0 offset:44 ; 4-byte Folded Spill
	s_nop 0
	buffer_store_dword v102, off, s[24:27], 0 offset:48 ; 4-byte Folded Spill
	v_fmac_f32_e32 v103, 0xbf1a4643, v133
	buffer_store_dword v104, off, s[24:27], 0 offset:168 ; 4-byte Folded Spill
	v_mov_b32_e32 v104, v195
	v_add_f32_e32 v103, v61, v103
	v_fmac_f32_e32 v104, 0xbe8c1d8e, v143
	v_mul_f32_e32 v192, 0xbeb8f4ab, v220
	v_add_f32_e32 v103, v104, v103
	v_mov_b32_e32 v104, v192
	v_fmac_f32_e32 v104, 0x3f6eb680, v155
	v_mul_f32_e32 v187, 0xbf06c442, v222
	v_add_f32_e32 v103, v104, v103
	v_mov_b32_e32 v104, v187
	v_fmac_f32_e32 v104, 0xbf59a7d5, v165
	buffer_store_dword v117, off, s[24:27], 0 offset:200 ; 4-byte Folded Spill
	v_mov_b32_e32 v117, v197
	v_mul_f32_e32 v197, 0x3f7ee86f, v227
	v_add_f32_e32 v103, v104, v103
	v_mov_b32_e32 v104, v197
	v_fmac_f32_e32 v104, 0x3dbcf732, v175
	buffer_store_dword v116, off, s[24:27], 0 offset:204 ; 4-byte Folded Spill
	v_mul_f32_e32 v116, 0xbf2c7751, v226
	v_add_f32_e32 v103, v104, v103
	v_mov_b32_e32 v104, v116
	v_fmac_f32_e32 v104, 0x3f3d2fb0, v190
	buffer_store_dword v108, off, s[24:27], 0 offset:196 ; 4-byte Folded Spill
	v_mul_f32_e32 v108, 0xbe3c28d5, v224
	v_add_f32_e32 v103, v104, v103
	v_mov_b32_e32 v104, v108
	v_fmac_f32_e32 v104, 0xbf7ba420, v207
	v_mul_f32_e32 v180, 0x3f65296c, v225
	v_add_f32_e32 v103, v104, v103
	v_mov_b32_e32 v104, v180
	v_fmac_f32_e32 v104, 0x3ee437d1, v217
	v_mul_f32_e32 v179, 0xbf4c4adb, v203
	v_add_f32_e32 v104, v104, v103
	v_fma_f32 v103, v128, s18, -v179
	v_mul_f32_e32 v171, 0x3f763a35, v216
	v_add_f32_e32 v103, v60, v103
	v_fma_f32 v231, v138, s20, -v171
	;; [unrolled: 3-line block ×8, first 2 shown]
	v_mul_f32_e32 v208, 0xbf06c442, v215
	v_add_f32_e32 v103, v231, v103
	v_mov_b32_e32 v231, v208
	v_mul_f32_e32 v210, 0x3f65296c, v218
	v_fmac_f32_e32 v231, 0xbf59a7d5, v133
	v_mov_b32_e32 v232, v210
	v_add_f32_e32 v231, v61, v231
	v_fmac_f32_e32 v232, 0x3ee437d1, v143
	v_mul_f32_e32 v211, 0xbf7ee86f, v220
	v_add_f32_e32 v231, v232, v231
	v_mov_b32_e32 v232, v211
	v_fmac_f32_e32 v232, 0x3dbcf732, v155
	v_mul_f32_e32 v212, 0x3f4c4adb, v222
	v_add_f32_e32 v231, v232, v231
	v_mov_b32_e32 v232, v212
	;; [unrolled: 4-line block ×6, first 2 shown]
	v_fmac_f32_e32 v232, 0xbe8c1d8e, v217
	v_mul_f32_e32 v238, 0xbf06c442, v203
	v_add_f32_e32 v232, v232, v231
	v_fma_f32 v231, v128, s21, -v238
	v_mul_f32_e32 v233, 0x3f65296c, v216
	v_add_f32_e32 v231, v60, v231
	v_fma_f32 v236, v138, s16, -v233
	v_add_f32_e32 v231, v236, v231
	v_mul_f32_e32 v236, 0xbf7ee86f, v219
	v_fma_f32 v246, v148, s17, -v236
	v_add_f32_e32 v231, v246, v231
	v_mul_f32_e32 v246, 0x3f4c4adb, v221
	;; [unrolled: 3-line block ×6, first 2 shown]
	v_fma_f32 v247, v209, s20, -v237
	v_mul_f32_e32 v215, 0xbe3c28d5, v215
	v_add_f32_e32 v231, v247, v231
	v_mov_b32_e32 v247, v215
	v_mul_f32_e32 v242, 0x3eb8f4ab, v218
	v_fmac_f32_e32 v247, 0xbf7ba420, v133
	v_mov_b32_e32 v218, v242
	v_add_f32_e32 v247, v61, v247
	v_fmac_f32_e32 v218, 0x3f6eb680, v143
	v_add_f32_e32 v218, v218, v247
	v_mul_f32_e32 v247, 0xbf06c442, v220
	v_mov_b32_e32 v220, v247
	v_fmac_f32_e32 v220, 0xbf59a7d5, v155
	v_mul_f32_e32 v222, 0x3f2c7751, v222
	v_add_f32_e32 v218, v220, v218
	v_mov_b32_e32 v220, v222
	v_fmac_f32_e32 v220, 0x3f3d2fb0, v165
	v_mul_f32_e32 v227, 0xbf4c4adb, v227
	v_fma_f32 v186, v133, s18, -v186
	v_add_f32_e32 v218, v220, v218
	v_mov_b32_e32 v220, v227
	v_add_f32_e32 v186, v61, v186
	v_fma_f32 v195, v143, s20, -v195
	v_fmac_f32_e32 v220, 0xbf1a4643, v175
	v_mul_f32_e32 v240, 0x3f65296c, v226
	v_fma_f32 v215, v133, s19, -v215
	v_add_f32_e32 v186, v195, v186
	v_fma_f32 v192, v155, s14, -v192
	v_add_f32_e32 v218, v220, v218
	v_mov_b32_e32 v220, v240
	v_add_f32_e32 v215, v61, v215
	v_fma_f32 v242, v143, s14, -v242
	v_add_f32_e32 v186, v192, v186
	v_fma_f32 v187, v165, s21, -v187
	v_fmac_f32_e32 v220, 0x3ee437d1, v190
	v_mul_f32_e32 v244, 0xbf763a35, v224
	v_add_f32_e32 v215, v242, v215
	v_fma_f32 v247, v155, s21, -v247
	v_add_f32_e32 v186, v187, v186
	v_fma_f32 v187, v175, s17, -v197
	v_add_f32_e32 v218, v220, v218
	v_mov_b32_e32 v220, v244
	v_add_f32_e32 v215, v247, v215
	v_fma_f32 v222, v165, s15, -v222
	v_add_f32_e32 v186, v187, v186
	v_fma_f32 v187, v190, s15, -v116
	v_fmac_f32_e32 v220, 0xbe8c1d8e, v207
	v_mul_f32_e32 v248, 0x3f7ee86f, v225
	v_add_f32_e32 v215, v222, v215
	v_fma_f32 v222, v175, s18, -v227
	v_add_f32_e32 v186, v187, v186
	v_fma_f32 v108, v207, s19, -v108
	v_add_f32_e32 v218, v220, v218
	v_mov_b32_e32 v220, v248
	v_add_f32_e32 v215, v222, v215
	v_fma_f32 v222, v190, s16, -v240
	v_add_f32_e32 v108, v108, v186
	v_fma_f32 v180, v217, s16, -v180
	v_fmac_f32_e32 v179, 0xbf1a4643, v128
	v_fmac_f32_e32 v220, 0x3dbcf732, v217
	v_mul_f32_e32 v203, 0xbe3c28d5, v203
	v_mul_f32_e32 v227, 0xbf06c442, v224
	v_add_f32_e32 v215, v222, v215
	v_fma_f32 v222, v207, s20, -v244
	v_mul_f32_e32 v244, 0x3f65296c, v224
	v_mul_f32_e32 v114, 0xbf7ee86f, v224
	;; [unrolled: 1-line block ×3, first 2 shown]
	v_add_f32_e32 v224, v180, v108
	v_add_f32_e32 v108, v60, v179
	v_fmac_f32_e32 v171, 0xbe8c1d8e, v138
	v_add_f32_e32 v220, v220, v218
	v_fma_f32 v218, v128, s19, -v203
	v_mul_f32_e32 v216, 0x3eb8f4ab, v216
	v_add_f32_e32 v108, v171, v108
	v_fmac_f32_e32 v198, 0x3f6eb680, v148
	v_add_f32_e32 v218, v60, v218
	buffer_store_dword v119, off, s[24:27], 0 offset:208 ; 4-byte Folded Spill
	v_mov_b32_e32 v119, v109
	v_fma_f32 v109, v138, s14, -v216
	v_fmac_f32_e32 v203, 0xbf7ba420, v128
	v_add_f32_e32 v108, v198, v108
	v_fmac_f32_e32 v200, 0xbf59a7d5, v158
	v_add_f32_e32 v109, v109, v218
	v_mul_f32_e32 v218, 0xbf06c442, v219
	v_add_f32_e32 v203, v60, v203
	v_fmac_f32_e32 v216, 0x3f6eb680, v138
	v_add_f32_e32 v108, v200, v108
	v_fmac_f32_e32 v201, 0x3dbcf732, v167
	v_fma_f32 v219, v148, s21, -v218
	v_mul_f32_e32 v221, 0x3f2c7751, v221
	v_add_f32_e32 v203, v216, v203
	v_fmac_f32_e32 v218, 0xbf59a7d5, v148
	v_add_f32_e32 v108, v201, v108
	v_fmac_f32_e32 v202, 0x3f3d2fb0, v178
	v_add_f32_e32 v109, v219, v109
	v_fma_f32 v219, v158, s15, -v221
	v_mul_f32_e32 v223, 0xbf4c4adb, v223
	v_add_f32_e32 v203, v218, v203
	v_fmac_f32_e32 v221, 0x3f3d2fb0, v158
	v_add_f32_e32 v108, v202, v108
	v_fmac_f32_e32 v204, 0xbf7ba420, v193
	v_add_f32_e32 v109, v219, v109
	v_fma_f32 v219, v167, s18, -v223
	v_add_f32_e32 v203, v221, v203
	v_fmac_f32_e32 v223, 0xbf1a4643, v167
	v_add_f32_e32 v108, v204, v108
	v_fmac_f32_e32 v206, 0x3ee437d1, v209
	v_add_f32_e32 v203, v223, v203
	v_add_f32_e32 v223, v206, v108
	v_fma_f32 v108, v133, s20, -v249
	v_fma_f32 v208, v133, s21, -v208
	v_add_f32_e32 v108, v61, v108
	v_fma_f32 v133, v143, s21, -v250
	v_add_f32_e32 v108, v133, v108
	v_fma_f32 v133, v155, s15, -v251
	v_add_f32_e32 v108, v133, v108
	v_fma_f32 v133, v165, s16, -v252
	v_add_f32_e32 v108, v133, v108
	v_fma_f32 v133, v175, s19, -v253
	v_add_f32_e32 v108, v133, v108
	v_fma_f32 v133, v190, s17, -v254
	v_add_f32_e32 v108, v133, v108
	v_fma_f32 v133, v207, s14, -v255
	v_add_f32_e32 v108, v133, v108
	v_fma_f32 v92, v217, s18, -v92
	v_fmac_f32_e32 v106, 0xbe8c1d8e, v128
	v_add_f32_e32 v218, v92, v108
	v_add_f32_e32 v92, v60, v106
	v_fmac_f32_e32 v173, 0xbf59a7d5, v138
	v_add_f32_e32 v208, v61, v208
	v_fma_f32 v210, v143, s16, -v210
	v_add_f32_e32 v92, v173, v92
	v_fmac_f32_e32 v176, 0x3f3d2fb0, v148
	v_add_f32_e32 v208, v210, v208
	v_fma_f32 v211, v155, s17, -v211
	;; [unrolled: 4-line block ×6, first 2 shown]
	v_add_f32_e32 v92, v183, v92
	v_fmac_f32_e32 v191, 0xbf1a4643, v209
	v_fma_f32 v216, v217, s17, -v248
	v_add_f32_e32 v208, v212, v208
	v_fma_f32 v212, v217, s20, -v245
	v_add_f32_e32 v217, v191, v92
	buffer_load_dword v92, off, s[24:27], 0 offset:160 ; 4-byte Folded Reload
	buffer_load_dword v102, off, s[24:27], 0 offset:172 ; 4-byte Folded Reload
	v_mul_f32_e32 v228, 0x3f65296c, v228
	v_add_f32_e32 v109, v219, v109
	v_fma_f32 v219, v178, s16, -v228
	v_mul_f32_e32 v229, 0xbf763a35, v229
	v_add_f32_e32 v109, v219, v109
	v_fma_f32 v219, v193, s20, -v229
	;; [unrolled: 3-line block ×3, first 2 shown]
	v_fmac_f32_e32 v228, 0x3ee437d1, v178
	v_add_f32_e32 v219, v219, v109
	v_mul_f32_e32 v109, 0x3f763a35, v226
	v_mul_f32_e32 v242, 0xbeb8f4ab, v226
	;; [unrolled: 1-line block ×3, first 2 shown]
	v_add_f32_e32 v203, v228, v203
	v_fmac_f32_e32 v229, 0xbe8c1d8e, v193
	v_add_f32_e32 v215, v222, v215
	v_add_f32_e32 v203, v229, v203
	v_fmac_f32_e32 v230, 0x3dbcf732, v209
	v_mul_f32_e32 v228, 0xbe3c28d5, v225
	v_add_f32_e32 v216, v216, v215
	v_add_f32_e32 v215, v230, v203
	v_mul_f32_e32 v203, 0x3eb8f4ab, v225
	v_mul_f32_e32 v210, 0xbf06c442, v225
	;; [unrolled: 1-line block ×5, first 2 shown]
	buffer_store_dword v101, off, s[24:27], 0 offset:216 ; 4-byte Folded Spill
	v_mov_b32_e32 v101, v113
	v_mul_f32_e32 v113, 0xbf1a4643, v193
	v_mul_f32_e32 v211, 0x3f3d2fb0, v209
	buffer_store_dword v110, off, s[24:27], 0 offset:212 ; 4-byte Folded Spill
	v_fmac_f32_e32 v238, 0xbf59a7d5, v128
	v_mul_f32_e32 v110, 0x3f6eb680, v178
	v_mul_f32_e32 v121, 0x3dbcf732, v193
	;; [unrolled: 1-line block ×5, first 2 shown]
	v_add_f32_e32 v222, v212, v208
	v_add_f32_e32 v208, v60, v238
	v_fmac_f32_e32 v233, 0x3ee437d1, v138
	v_add_f32_e32 v208, v233, v208
	v_fmac_f32_e32 v236, 0x3dbcf732, v148
	;; [unrolled: 2-line block ×4, first 2 shown]
	v_mul_f32_e32 v123, 0xbf7ba420, v209
	v_add_f32_e32 v208, v239, v208
	v_fmac_f32_e32 v234, 0xbf7ba420, v178
	v_mov_b32_e32 v197, v117
	v_add_f32_e32 v208, v234, v208
	v_fmac_f32_e32 v243, 0x3f3d2fb0, v193
	v_add_f32_e32 v208, v243, v208
	v_fmac_f32_e32 v237, 0xbe8c1d8e, v209
	v_add_f32_e32 v221, v237, v208
	s_waitcnt vmcnt(3)
	v_sub_f32_e32 v92, v130, v92
	s_waitcnt vmcnt(2)
	v_sub_f32_e32 v106, v140, v102
	buffer_load_dword v102, off, s[24:27], 0 offset:184 ; 4-byte Folded Reload
	v_add_f32_e32 v92, v61, v92
	v_add_f32_e32 v92, v106, v92
	s_waitcnt vmcnt(0)
	v_sub_f32_e32 v106, v150, v102
	buffer_load_dword v102, off, s[24:27], 0 offset:188 ; 4-byte Folded Reload
	v_add_f32_e32 v92, v106, v92
	s_waitcnt vmcnt(0)
	v_sub_f32_e32 v106, v160, v102
	buffer_load_dword v102, off, s[24:27], 0 offset:192 ; 4-byte Folded Reload
	v_add_f32_e32 v92, v106, v92
	s_waitcnt vmcnt(0)
	v_sub_f32_e32 v106, v169, v102
	v_add_f32_e32 v92, v106, v92
	v_sub_f32_e32 v106, v182, v226
	v_add_f32_e32 v92, v106, v92
	;; [unrolled: 2-line block ×4, first 2 shown]
	buffer_load_dword v92, off, s[24:27], 0 offset:136 ; 4-byte Folded Reload
	buffer_load_dword v102, off, s[24:27], 0 offset:144 ; 4-byte Folded Reload
	s_waitcnt vmcnt(1)
	v_add_f32_e32 v92, v92, v120
	s_waitcnt vmcnt(0)
	v_add_f32_e32 v106, v102, v134
	buffer_load_dword v102, off, s[24:27], 0 offset:152 ; 4-byte Folded Reload
	v_add_f32_e32 v92, v60, v92
	v_add_f32_e32 v92, v106, v92
	s_waitcnt vmcnt(0)
	v_add_f32_e32 v106, v102, v144
	buffer_load_dword v102, off, s[24:27], 0 offset:164 ; 4-byte Folded Reload
	v_add_f32_e32 v92, v106, v92
	s_waitcnt vmcnt(0)
	v_add_f32_e32 v106, v102, v153
	buffer_load_dword v102, off, s[24:27], 0 offset:176 ; 4-byte Folded Reload
	v_add_f32_e32 v92, v106, v92
	s_waitcnt vmcnt(0)
	v_add_f32_e32 v106, v102, v164
	v_add_f32_e32 v92, v106, v92
	;; [unrolled: 1-line block ×8, first 2 shown]
	buffer_load_dword v92, off, s[24:27], 0 offset:112 ; 4-byte Folded Reload
	buffer_load_dword v102, off, s[24:27], 0 offset:204 ; 4-byte Folded Reload
	s_waitcnt vmcnt(0)
	v_sub_f32_e32 v92, v102, v92
	buffer_load_dword v102, off, s[24:27], 0 offset:120 ; 4-byte Folded Reload
	v_add_f32_e32 v92, v61, v92
	s_waitcnt vmcnt(0)
	v_sub_f32_e32 v106, v127, v102
	buffer_load_dword v102, off, s[24:27], 0 offset:132 ; 4-byte Folded Reload
	v_add_f32_e32 v92, v106, v92
	;; [unrolled: 4-line block ×4, first 2 shown]
	s_waitcnt vmcnt(0)
	v_sub_f32_e32 v106, v157, v102
	v_add_f32_e32 v92, v106, v92
	v_sub_f32_e32 v106, v166, v242
	v_add_f32_e32 v92, v106, v92
	;; [unrolled: 2-line block ×4, first 2 shown]
	buffer_load_dword v92, off, s[24:27], 0 offset:92 ; 4-byte Folded Reload
	buffer_load_dword v102, off, s[24:27], 0 offset:100 ; 4-byte Folded Reload
	s_waitcnt vmcnt(1)
	v_add_f32_e32 v92, v92, v112
	s_waitcnt vmcnt(0)
	v_add_f32_e32 v106, v102, v118
	buffer_load_dword v102, off, s[24:27], 0 offset:108 ; 4-byte Folded Reload
	v_add_f32_e32 v92, v60, v92
	v_add_f32_e32 v92, v106, v92
	s_waitcnt vmcnt(0)
	v_add_f32_e32 v106, v102, v131
	buffer_load_dword v102, off, s[24:27], 0 offset:116 ; 4-byte Folded Reload
	v_add_f32_e32 v92, v106, v92
	s_waitcnt vmcnt(0)
	v_add_f32_e32 v106, v102, v141
	buffer_load_dword v102, off, s[24:27], 0 offset:128 ; 4-byte Folded Reload
	v_add_f32_e32 v92, v106, v92
	s_waitcnt vmcnt(0)
	v_add_f32_e32 v106, v102, v152
	v_add_f32_e32 v92, v106, v92
	;; [unrolled: 1-line block ×8, first 2 shown]
	buffer_load_dword v92, off, s[24:27], 0 offset:68 ; 4-byte Folded Reload
	buffer_load_dword v102, off, s[24:27], 0 offset:76 ; 4-byte Folded Reload
	s_waitcnt vmcnt(1)
	v_sub_f32_e32 v92, v119, v92
	s_waitcnt vmcnt(0)
	v_sub_f32_e32 v106, v122, v102
	buffer_load_dword v102, off, s[24:27], 0 offset:84 ; 4-byte Folded Reload
	v_add_f32_e32 v92, v61, v92
	v_add_f32_e32 v92, v106, v92
	s_waitcnt vmcnt(0)
	v_sub_f32_e32 v106, v125, v102
	buffer_load_dword v102, off, s[24:27], 0 offset:96 ; 4-byte Folded Reload
	v_add_f32_e32 v92, v106, v92
	s_waitcnt vmcnt(0)
	v_sub_f32_e32 v106, v135, v102
	buffer_load_dword v102, off, s[24:27], 0 offset:104 ; 4-byte Folded Reload
	v_add_f32_e32 v92, v106, v92
	s_waitcnt vmcnt(0)
	v_sub_f32_e32 v106, v145, v102
	v_add_f32_e32 v92, v106, v92
	v_sub_f32_e32 v106, v154, v109
	v_add_f32_e32 v92, v106, v92
	v_sub_f32_e32 v106, v163, v244
	v_add_f32_e32 v92, v106, v92
	v_sub_f32_e32 v106, v172, v203
	v_add_f32_e32 v116, v106, v92
	buffer_load_dword v92, off, s[24:27], 0 offset:36 ; 4-byte Folded Reload
	buffer_load_dword v102, off, s[24:27], 0 offset:180 ; 4-byte Folded Reload
	s_waitcnt vmcnt(0)
	v_add_f32_e32 v92, v92, v102
	buffer_load_dword v102, off, s[24:27], 0 offset:52 ; 4-byte Folded Reload
	v_add_f32_e32 v92, v60, v92
	s_waitcnt vmcnt(0)
	v_add_f32_e32 v106, v102, v111
	v_add_f32_e32 v92, v106, v92
	buffer_load_dword v102, off, s[24:27], 0 offset:60 ; 4-byte Folded Reload
	buffer_load_dword v106, off, s[24:27], 0 offset:200 ; 4-byte Folded Reload
	s_waitcnt vmcnt(0)
	v_add_f32_e32 v106, v102, v106
	buffer_load_dword v102, off, s[24:27], 0 offset:72 ; 4-byte Folded Reload
	v_add_f32_e32 v92, v106, v92
	s_waitcnt vmcnt(0)
	v_add_f32_e32 v106, v102, v129
	buffer_load_dword v102, off, s[24:27], 0 offset:80 ; 4-byte Folded Reload
	v_add_f32_e32 v92, v106, v92
	;; [unrolled: 4-line block ×3, first 2 shown]
	s_waitcnt vmcnt(0)
	v_add_f32_e32 v106, v102, v149
	v_add_f32_e32 v92, v106, v92
	;; [unrolled: 1-line block ×6, first 2 shown]
	buffer_load_dword v92, off, s[24:27], 0 offset:12 ; 4-byte Folded Reload
	buffer_load_dword v102, off, s[24:27], 0 offset:156 ; 4-byte Folded Reload
	s_waitcnt vmcnt(0)
	v_sub_f32_e32 v92, v102, v92
	buffer_load_dword v102, off, s[24:27], 0 offset:20 ; 4-byte Folded Reload
	buffer_load_dword v106, off, s[24:27], 0 offset:196 ; 4-byte Folded Reload
	v_add_f32_e32 v92, v61, v92
	v_add_f32_e32 v61, v63, v61
	;; [unrolled: 1-line block ×17, first 2 shown]
	s_waitcnt vmcnt(0)
	v_sub_f32_e32 v106, v106, v102
	buffer_load_dword v102, off, s[24:27], 0 offset:28 ; 4-byte Folded Reload
	v_add_f32_e32 v92, v106, v92
	s_waitcnt vmcnt(0)
	v_sub_f32_e32 v106, v101, v102
	buffer_load_dword v101, off, s[24:27], 0 offset:40 ; 4-byte Folded Reload
	buffer_load_dword v102, off, s[24:27], 0 offset:208 ; 4-byte Folded Reload
	v_add_f32_e32 v92, v106, v92
	s_waitcnt vmcnt(0)
	v_sub_f32_e32 v106, v102, v101
	buffer_load_dword v101, off, s[24:27], 0 offset:56 ; 4-byte Folded Reload
	v_add_f32_e32 v92, v106, v92
	s_waitcnt vmcnt(0)
	v_sub_f32_e32 v106, v132, v101
	;; [unrolled: 4-line block ×3, first 2 shown]
	v_add_f32_e32 v92, v106, v92
	v_sub_f32_e32 v106, v151, v227
	v_add_f32_e32 v92, v106, v92
	v_sub_f32_e32 v106, v161, v228
	v_add_f32_e32 v109, v106, v92
	buffer_load_dword v92, off, s[24:27], 0 ; 4-byte Folded Reload
	buffer_load_dword v101, off, s[24:27], 0 offset:124 ; 4-byte Folded Reload
	s_waitcnt vmcnt(0)
	v_add_f32_e32 v92, v92, v101
	buffer_load_dword v101, off, s[24:27], 0 offset:4 ; 4-byte Folded Reload
	buffer_load_dword v102, off, s[24:27], 0 offset:168 ; 4-byte Folded Reload
	v_add_f32_e32 v92, v60, v92
	v_add_f32_e32 v60, v62, v60
	;; [unrolled: 1-line block ×16, first 2 shown]
	v_mul_lo_u16_e32 v62, 17, v197
	v_add_f32_e32 v60, v99, v60
	v_lshlrev_b32_e32 v62, 3, v62
	s_waitcnt vmcnt(0)
	v_add_f32_e32 v106, v101, v102
	buffer_load_dword v101, off, s[24:27], 0 offset:8 ; 4-byte Folded Reload
	buffer_load_dword v102, off, s[24:27], 0 offset:212 ; 4-byte Folded Reload
	v_add_f32_e32 v92, v106, v92
	s_waitcnt vmcnt(0)
	v_add_f32_e32 v106, v101, v102
	buffer_load_dword v101, off, s[24:27], 0 offset:16 ; 4-byte Folded Reload
	v_add_f32_e32 v92, v106, v92
	s_waitcnt vmcnt(0)
	v_add_f32_e32 v106, v101, v124
	;; [unrolled: 4-line block ×5, first 2 shown]
	v_add_f32_e32 v92, v106, v92
	v_add_f32_e32 v106, v123, v156
	v_add_f32_e32 v108, v106, v92
	ds_write2_b64 v62, v[60:61], v[108:109] offset1:1
	ds_write2_b64 v62, v[115:116], v[127:128] offset0:2 offset1:3
	ds_write2_b64 v62, v[164:165], v[217:218] offset0:4 offset1:5
	;; [unrolled: 1-line block ×5, first 2 shown]
	buffer_load_dword v60, off, s[24:27], 0 offset:44 ; 4-byte Folded Reload
	buffer_load_dword v61, off, s[24:27], 0 offset:48 ; 4-byte Folded Reload
	s_waitcnt vmcnt(0)
	ds_write2_b64 v62, v[60:61], v[97:98] offset0:12 offset1:13
	ds_write2_b64 v62, v[95:96], v[56:57] offset0:14 offset1:15
	ds_write_b64 v62, v[58:59] offset:128
.LBB0_17:
	s_or_b64 exec, exec, s[12:13]
	s_waitcnt lgkmcnt(0)
	s_barrier
	ds_read2_b64 v[63:66], v105 offset1:153
	v_add_u32_e32 v60, 0x800, v105
	ds_read2_b64 v[67:70], v60 offset0:50 offset1:203
	v_add_u32_e32 v60, 0x1000, v105
	ds_read2_b64 v[71:74], v60 offset0:100 offset1:253
	;; [unrolled: 2-line block ×3, first 2 shown]
	v_add_u32_e32 v60, 0x2400, v105
	s_waitcnt lgkmcnt(3)
	v_mul_f32_e32 v87, v33, v66
	v_mul_f32_e32 v33, v33, v65
	ds_read2_b64 v[79:82], v60 offset0:72 offset1:225
	v_fmac_f32_e32 v87, v32, v65
	v_fma_f32 v32, v32, v66, -v33
	s_waitcnt lgkmcnt(3)
	v_mul_f32_e32 v33, v35, v68
	v_mul_f32_e32 v35, v35, v67
	v_fmac_f32_e32 v33, v34, v67
	v_fma_f32 v34, v34, v68, -v35
	v_mul_f32_e32 v35, v25, v70
	v_mul_f32_e32 v25, v25, v69
	v_add_u32_e32 v62, 0x2e00, v105
	v_fmac_f32_e32 v35, v24, v69
	v_fma_f32 v65, v24, v70, -v25
	s_waitcnt lgkmcnt(2)
	v_mul_f32_e32 v66, v27, v72
	v_mul_f32_e32 v24, v27, v71
	;; [unrolled: 1-line block ×4, first 2 shown]
	ds_read2_b64 v[83:86], v62 offset0:58 offset1:211
	ds_read_b64 v[60:61], v105 offset:14688
	v_fmac_f32_e32 v27, v20, v73
	v_fma_f32 v20, v20, v74, -v21
	s_waitcnt lgkmcnt(3)
	v_mul_f32_e32 v21, v23, v76
	v_mul_f32_e32 v23, v23, v75
	v_fmac_f32_e32 v21, v22, v75
	v_fma_f32 v22, v22, v76, -v23
	v_mul_f32_e32 v23, v17, v78
	v_mul_f32_e32 v17, v17, v77
	v_fmac_f32_e32 v23, v16, v77
	v_fma_f32 v16, v16, v78, -v17
	s_waitcnt lgkmcnt(2)
	v_mul_f32_e32 v17, v19, v80
	v_mul_f32_e32 v19, v19, v79
	v_fmac_f32_e32 v66, v26, v71
	v_fma_f32 v26, v26, v72, -v24
	v_fmac_f32_e32 v17, v18, v79
	v_fma_f32 v18, v18, v80, -v19
	v_mul_f32_e32 v19, v37, v82
	v_mul_f32_e32 v24, v37, v81
	v_fmac_f32_e32 v19, v36, v81
	v_fma_f32 v36, v36, v82, -v24
	s_waitcnt lgkmcnt(1)
	v_mul_f32_e32 v37, v39, v84
	v_mul_f32_e32 v24, v39, v83
	v_fmac_f32_e32 v37, v38, v83
	v_fma_f32 v38, v38, v84, -v24
	v_mul_f32_e32 v39, v29, v86
	v_mul_f32_e32 v24, v29, v85
	v_fmac_f32_e32 v39, v28, v85
	v_fma_f32 v28, v28, v86, -v24
	s_waitcnt lgkmcnt(0)
	v_mul_f32_e32 v29, v31, v61
	v_mul_f32_e32 v24, v31, v60
	v_fmac_f32_e32 v29, v30, v60
	v_fma_f32 v30, v30, v61, -v24
	v_add_f32_e32 v24, v63, v87
	v_add_f32_e32 v25, v64, v32
	;; [unrolled: 1-line block ×25, first 2 shown]
	v_sub_f32_e32 v29, v87, v29
	v_mul_f32_e32 v67, 0x3f62ad3f, v60
	v_mul_f32_e32 v71, 0x3f116cb1, v60
	;; [unrolled: 1-line block ×6, first 2 shown]
	v_add_f32_e32 v25, v25, v30
	v_sub_f32_e32 v30, v32, v30
	v_mov_b32_e32 v68, v67
	v_mov_b32_e32 v72, v71
	;; [unrolled: 1-line block ×6, first 2 shown]
	v_fmac_f32_e32 v60, 0xbe750f2a, v29
	v_mul_f32_e32 v32, 0xbeedf032, v30
	v_fmac_f32_e32 v68, 0x3eedf032, v29
	v_fmac_f32_e32 v67, 0xbeedf032, v29
	v_mul_f32_e32 v69, 0xbf52af12, v30
	v_fmac_f32_e32 v72, 0x3f52af12, v29
	;; [unrolled: 3-line block ×6, first 2 shown]
	v_add_f32_e32 v29, v64, v60
	v_add_f32_e32 v60, v34, v28
	v_sub_f32_e32 v28, v34, v28
	s_mov_b32 s14, 0x3f62ad3f
	v_mov_b32_e32 v61, v32
	s_mov_b32 s13, 0x3f116cb1
	v_mov_b32_e32 v70, v69
	;; [unrolled: 2-line block ×6, first 2 shown]
	v_mul_f32_e32 v34, 0xbf52af12, v28
	v_fmac_f32_e32 v61, 0x3f62ad3f, v31
	v_fma_f32 v32, v31, s14, -v32
	v_fmac_f32_e32 v70, 0x3f116cb1, v31
	v_fma_f32 v69, v31, s13, -v69
	;; [unrolled: 2-line block ×6, first 2 shown]
	v_add_f32_e32 v31, v33, v39
	v_sub_f32_e32 v33, v33, v39
	v_mov_b32_e32 v39, v34
	v_add_f32_e32 v61, v63, v61
	v_fmac_f32_e32 v39, 0x3f116cb1, v31
	v_add_f32_e32 v39, v39, v61
	v_mul_f32_e32 v61, 0x3f116cb1, v60
	v_add_f32_e32 v32, v63, v32
	v_add_f32_e32 v67, v64, v67
	;; [unrolled: 1-line block ×12, first 2 shown]
	v_mov_b32_e32 v63, v61
	v_fma_f32 v34, v31, s13, -v34
	v_fmac_f32_e32 v61, 0xbf52af12, v33
	v_add_f32_e32 v32, v34, v32
	v_add_f32_e32 v34, v61, v67
	v_mul_f32_e32 v61, 0xbf6f5d39, v28
	v_add_f32_e32 v68, v64, v68
	v_add_f32_e32 v72, v64, v72
	;; [unrolled: 1-line block ×10, first 2 shown]
	v_mov_b32_e32 v64, v61
	v_fma_f32 v61, v31, s15, -v61
	v_fmac_f32_e32 v63, 0x3f52af12, v33
	v_fmac_f32_e32 v64, 0xbeb58ec6, v31
	v_mul_f32_e32 v67, 0xbeb58ec6, v60
	v_add_f32_e32 v61, v61, v69
	v_mul_f32_e32 v69, 0xbe750f2a, v28
	v_add_f32_e32 v63, v63, v68
	v_add_f32_e32 v64, v64, v70
	v_mov_b32_e32 v68, v67
	v_fmac_f32_e32 v67, 0xbf6f5d39, v33
	v_mov_b32_e32 v70, v69
	v_fma_f32 v69, v31, s17, -v69
	v_fmac_f32_e32 v68, 0x3f6f5d39, v33
	v_add_f32_e32 v67, v67, v71
	v_fmac_f32_e32 v70, 0xbf788fa5, v31
	v_mul_f32_e32 v71, 0xbf788fa5, v60
	v_add_f32_e32 v69, v69, v73
	v_mul_f32_e32 v73, 0x3f29c268, v28
	v_add_f32_e32 v68, v68, v72
	v_add_f32_e32 v70, v70, v74
	v_mov_b32_e32 v72, v71
	v_fmac_f32_e32 v71, 0xbe750f2a, v33
	v_mov_b32_e32 v74, v73
	v_fma_f32 v73, v31, s16, -v73
	v_fmac_f32_e32 v72, 0x3e750f2a, v33
	v_add_f32_e32 v71, v71, v75
	v_fmac_f32_e32 v74, 0xbf3f9e67, v31
	v_mul_f32_e32 v75, 0xbf3f9e67, v60
	v_add_f32_e32 v73, v73, v77
	v_mul_f32_e32 v77, 0x3f7e222b, v28
	v_add_f32_e32 v72, v72, v76
	v_add_f32_e32 v74, v74, v78
	v_mov_b32_e32 v76, v75
	v_fmac_f32_e32 v75, 0x3f29c268, v33
	v_mov_b32_e32 v78, v77
	v_fmac_f32_e32 v76, 0xbf29c268, v33
	v_add_f32_e32 v75, v75, v79
	v_fmac_f32_e32 v78, 0x3df6dbef, v31
	v_mul_f32_e32 v79, 0x3df6dbef, v60
	v_fma_f32 v77, v31, s12, -v77
	v_mul_f32_e32 v28, 0x3eedf032, v28
	v_mul_f32_e32 v60, 0x3f62ad3f, v60
	v_add_f32_e32 v76, v76, v80
	v_add_f32_e32 v78, v78, v82
	v_mov_b32_e32 v80, v79
	v_add_f32_e32 v77, v77, v81
	v_mov_b32_e32 v81, v28
	v_mov_b32_e32 v82, v60
	v_fma_f32 v28, v31, s14, -v28
	v_fmac_f32_e32 v80, 0xbf7e222b, v33
	v_fmac_f32_e32 v79, 0x3f7e222b, v33
	;; [unrolled: 1-line block ×3, first 2 shown]
	v_add_f32_e32 v28, v28, v30
	v_fmac_f32_e32 v60, 0x3eedf032, v33
	v_add_f32_e32 v30, v35, v37
	v_sub_f32_e32 v33, v35, v37
	v_sub_f32_e32 v35, v65, v38
	v_mul_f32_e32 v37, 0xbf7e222b, v35
	v_fmac_f32_e32 v81, 0x3f62ad3f, v31
	v_add_f32_e32 v31, v65, v38
	v_mov_b32_e32 v38, v37
	v_fmac_f32_e32 v38, 0x3df6dbef, v30
	v_add_f32_e32 v38, v38, v39
	v_mul_f32_e32 v39, 0x3df6dbef, v31
	v_fma_f32 v37, v30, s12, -v37
	v_add_f32_e32 v29, v60, v29
	v_mov_b32_e32 v60, v39
	v_add_f32_e32 v32, v37, v32
	v_fmac_f32_e32 v39, 0xbf7e222b, v33
	v_mul_f32_e32 v37, 0xbe750f2a, v35
	v_fmac_f32_e32 v60, 0x3f7e222b, v33
	v_add_f32_e32 v34, v39, v34
	v_mov_b32_e32 v39, v37
	v_add_f32_e32 v60, v60, v63
	v_fmac_f32_e32 v39, 0xbf788fa5, v30
	v_mul_f32_e32 v63, 0xbf788fa5, v31
	v_add_f32_e32 v39, v39, v64
	v_mov_b32_e32 v64, v63
	v_fma_f32 v37, v30, s17, -v37
	v_fmac_f32_e32 v63, 0xbe750f2a, v33
	v_add_f32_e32 v37, v37, v61
	v_add_f32_e32 v61, v63, v67
	v_mul_f32_e32 v63, 0x3f6f5d39, v35
	v_mov_b32_e32 v65, v63
	v_fma_f32 v63, v30, s15, -v63
	v_fmac_f32_e32 v64, 0x3e750f2a, v33
	v_fmac_f32_e32 v65, 0xbeb58ec6, v30
	v_mul_f32_e32 v67, 0xbeb58ec6, v31
	v_add_f32_e32 v63, v63, v69
	v_mul_f32_e32 v69, 0x3eedf032, v35
	v_add_f32_e32 v64, v64, v68
	v_add_f32_e32 v65, v65, v70
	v_mov_b32_e32 v68, v67
	v_fmac_f32_e32 v67, 0x3f6f5d39, v33
	v_mov_b32_e32 v70, v69
	v_fma_f32 v69, v30, s14, -v69
	v_fmac_f32_e32 v68, 0xbf6f5d39, v33
	v_add_f32_e32 v67, v67, v71
	v_fmac_f32_e32 v70, 0x3f62ad3f, v30
	v_mul_f32_e32 v71, 0x3f62ad3f, v31
	v_add_f32_e32 v69, v69, v73
	v_mul_f32_e32 v73, 0xbf52af12, v35
	v_add_f32_e32 v68, v68, v72
	v_add_f32_e32 v70, v70, v74
	v_mov_b32_e32 v72, v71
	v_fmac_f32_e32 v71, 0x3eedf032, v33
	v_mov_b32_e32 v74, v73
	v_add_f32_e32 v71, v71, v75
	v_fmac_f32_e32 v74, 0x3f116cb1, v30
	v_mul_f32_e32 v75, 0x3f116cb1, v31
	v_mul_f32_e32 v31, 0xbf3f9e67, v31
	v_fmac_f32_e32 v72, 0xbeedf032, v33
	v_add_f32_e32 v74, v74, v78
	v_fma_f32 v73, v30, s13, -v73
	v_mul_f32_e32 v35, 0xbf29c268, v35
	v_mov_b32_e32 v78, v31
	v_fmac_f32_e32 v31, 0xbf29c268, v33
	v_add_f32_e32 v72, v72, v76
	v_mov_b32_e32 v76, v75
	v_add_f32_e32 v73, v73, v77
	v_mov_b32_e32 v77, v35
	v_add_f32_e32 v29, v31, v29
	v_add_f32_e32 v31, v26, v36
	v_sub_f32_e32 v26, v26, v36
	v_fmac_f32_e32 v76, 0x3f52af12, v33
	v_fmac_f32_e32 v75, 0xbf52af12, v33
	;; [unrolled: 1-line block ×4, first 2 shown]
	v_fma_f32 v30, v30, s16, -v35
	v_mul_f32_e32 v33, 0xbf6f5d39, v26
	v_add_f32_e32 v28, v30, v28
	v_add_f32_e32 v30, v66, v19
	v_mov_b32_e32 v35, v33
	v_sub_f32_e32 v19, v66, v19
	v_fmac_f32_e32 v35, 0xbeb58ec6, v30
	v_mul_f32_e32 v36, 0xbeb58ec6, v31
	v_add_f32_e32 v35, v35, v38
	v_mov_b32_e32 v38, v36
	v_fma_f32 v33, v30, s15, -v33
	v_fmac_f32_e32 v36, 0xbf6f5d39, v19
	v_add_f32_e32 v32, v33, v32
	v_add_f32_e32 v33, v36, v34
	v_mul_f32_e32 v34, 0x3f29c268, v26
	v_mov_b32_e32 v36, v34
	v_fmac_f32_e32 v36, 0xbf3f9e67, v30
	v_fmac_f32_e32 v38, 0x3f6f5d39, v19
	v_add_f32_e32 v36, v36, v39
	v_mul_f32_e32 v39, 0xbf3f9e67, v31
	v_add_f32_e32 v38, v38, v60
	v_mov_b32_e32 v60, v39
	v_fma_f32 v34, v30, s16, -v34
	v_fmac_f32_e32 v39, 0x3f29c268, v19
	v_add_f32_e32 v34, v34, v37
	v_add_f32_e32 v37, v39, v61
	v_mul_f32_e32 v39, 0x3eedf032, v26
	v_fmac_f32_e32 v60, 0xbf29c268, v19
	v_mov_b32_e32 v61, v39
	v_add_f32_e32 v60, v60, v64
	v_fmac_f32_e32 v61, 0x3f62ad3f, v30
	v_mul_f32_e32 v64, 0x3f62ad3f, v31
	v_add_f32_e32 v61, v61, v65
	v_mov_b32_e32 v65, v64
	v_fma_f32 v39, v30, s14, -v39
	v_fmac_f32_e32 v64, 0x3eedf032, v19
	v_add_f32_e32 v39, v39, v63
	v_add_f32_e32 v63, v64, v67
	v_mul_f32_e32 v64, 0xbf7e222b, v26
	v_mov_b32_e32 v66, v64
	v_fma_f32 v64, v30, s12, -v64
	v_fmac_f32_e32 v65, 0xbeedf032, v19
	v_fmac_f32_e32 v66, 0x3df6dbef, v30
	v_mul_f32_e32 v67, 0x3df6dbef, v31
	v_add_f32_e32 v64, v64, v69
	v_mul_f32_e32 v69, 0x3e750f2a, v26
	v_add_f32_e32 v65, v65, v68
	v_add_f32_e32 v66, v66, v70
	v_mov_b32_e32 v68, v67
	v_fmac_f32_e32 v67, 0xbf7e222b, v19
	v_mov_b32_e32 v70, v69
	v_fmac_f32_e32 v68, 0x3f7e222b, v19
	v_add_f32_e32 v67, v67, v71
	v_fmac_f32_e32 v70, 0xbf788fa5, v30
	v_mul_f32_e32 v71, 0xbf788fa5, v31
	v_mul_f32_e32 v31, 0x3f116cb1, v31
	v_add_f32_e32 v68, v68, v72
	v_add_f32_e32 v70, v70, v74
	v_mov_b32_e32 v72, v71
	v_fma_f32 v69, v30, s17, -v69
	v_mul_f32_e32 v26, 0x3f52af12, v26
	v_mov_b32_e32 v74, v31
	v_fmac_f32_e32 v31, 0x3f52af12, v19
	v_fmac_f32_e32 v72, 0xbe750f2a, v19
	v_add_f32_e32 v69, v69, v73
	v_fmac_f32_e32 v71, 0x3e750f2a, v19
	v_mov_b32_e32 v73, v26
	v_fmac_f32_e32 v74, 0xbf52af12, v19
	v_fma_f32 v26, v30, s13, -v26
	v_add_f32_e32 v19, v31, v29
	v_add_f32_e32 v29, v20, v18
	v_sub_f32_e32 v18, v20, v18
	v_add_f32_e32 v26, v26, v28
	v_add_f32_e32 v28, v27, v17
	v_mul_f32_e32 v20, 0xbf29c268, v18
	v_fmac_f32_e32 v73, 0x3f116cb1, v30
	v_sub_f32_e32 v17, v27, v17
	v_mov_b32_e32 v27, v20
	v_mul_f32_e32 v30, 0xbf3f9e67, v29
	v_fma_f32 v20, v28, s16, -v20
	v_mov_b32_e32 v31, v30
	v_add_f32_e32 v20, v20, v32
	v_fmac_f32_e32 v30, 0xbf29c268, v17
	v_mul_f32_e32 v32, 0x3f7e222b, v18
	v_fmac_f32_e32 v27, 0xbf3f9e67, v28
	v_add_f32_e32 v30, v30, v33
	v_mov_b32_e32 v33, v32
	v_add_f32_e32 v27, v27, v35
	v_fmac_f32_e32 v33, 0x3df6dbef, v28
	v_mul_f32_e32 v35, 0x3df6dbef, v29
	v_add_f32_e32 v33, v33, v36
	v_mov_b32_e32 v36, v35
	v_fma_f32 v32, v28, s12, -v32
	v_fmac_f32_e32 v35, 0x3f7e222b, v17
	v_add_f32_e32 v32, v32, v34
	v_add_f32_e32 v34, v35, v37
	v_mul_f32_e32 v35, 0xbf52af12, v18
	v_fmac_f32_e32 v31, 0x3f29c268, v17
	v_mov_b32_e32 v37, v35
	v_fma_f32 v35, v28, s13, -v35
	v_add_f32_e32 v31, v31, v38
	v_fmac_f32_e32 v36, 0xbf7e222b, v17
	v_fmac_f32_e32 v37, 0x3f116cb1, v28
	v_mul_f32_e32 v38, 0x3f116cb1, v29
	v_add_f32_e32 v35, v35, v39
	v_mul_f32_e32 v39, 0x3e750f2a, v18
	v_add_f32_e32 v36, v36, v60
	v_add_f32_e32 v37, v37, v61
	v_mov_b32_e32 v60, v38
	v_fmac_f32_e32 v38, 0xbf52af12, v17
	v_mov_b32_e32 v61, v39
	v_fma_f32 v39, v28, s17, -v39
	v_fmac_f32_e32 v60, 0x3f52af12, v17
	v_add_f32_e32 v38, v38, v63
	v_fmac_f32_e32 v61, 0xbf788fa5, v28
	v_mul_f32_e32 v63, 0xbf788fa5, v29
	v_add_f32_e32 v39, v39, v64
	v_mul_f32_e32 v64, 0x3eedf032, v18
	v_add_f32_e32 v60, v60, v65
	v_add_f32_e32 v61, v61, v66
	v_mov_b32_e32 v65, v63
	v_fmac_f32_e32 v63, 0x3e750f2a, v17
	v_mov_b32_e32 v66, v64
	v_add_f32_e32 v80, v80, v84
	v_add_f32_e32 v82, v82, v86
	v_add_f32_e32 v63, v63, v67
	v_fmac_f32_e32 v66, 0x3f62ad3f, v28
	v_mul_f32_e32 v67, 0x3f62ad3f, v29
	v_mul_f32_e32 v29, 0xbeb58ec6, v29
	v_add_f32_e32 v81, v81, v85
	v_add_f32_e32 v76, v76, v80
	;; [unrolled: 1-line block ×4, first 2 shown]
	v_fma_f32 v64, v28, s14, -v64
	v_mul_f32_e32 v18, 0xbf6f5d39, v18
	v_mov_b32_e32 v70, v29
	v_add_f32_e32 v77, v77, v81
	v_add_f32_e32 v72, v72, v76
	;; [unrolled: 1-line block ×3, first 2 shown]
	v_fmac_f32_e32 v65, 0xbe750f2a, v17
	v_add_f32_e32 v64, v64, v69
	v_mov_b32_e32 v69, v18
	v_fmac_f32_e32 v70, 0x3f6f5d39, v17
	v_sub_f32_e32 v76, v22, v16
	v_add_f32_e32 v79, v79, v83
	v_add_f32_e32 v73, v73, v77
	;; [unrolled: 1-line block ×3, first 2 shown]
	v_mov_b32_e32 v68, v67
	v_fmac_f32_e32 v69, 0xbeb58ec6, v28
	v_add_f32_e32 v70, v70, v74
	v_add_f32_e32 v74, v22, v16
	v_mul_f32_e32 v16, 0xbe750f2a, v76
	v_add_f32_e32 v75, v75, v79
	v_fmac_f32_e32 v68, 0xbeedf032, v17
	v_fmac_f32_e32 v67, 0x3eedf032, v17
	v_add_f32_e32 v69, v69, v73
	v_fmac_f32_e32 v29, 0xbf6f5d39, v17
	v_add_f32_e32 v73, v21, v23
	v_mov_b32_e32 v17, v16
	v_add_f32_e32 v71, v71, v75
	v_fma_f32 v18, v28, s15, -v18
	v_fmac_f32_e32 v17, 0xbf788fa5, v73
	v_add_f32_e32 v67, v67, v71
	v_add_f32_e32 v71, v18, v26
	v_sub_f32_e32 v75, v21, v23
	v_add_f32_e32 v26, v17, v27
	v_mul_f32_e32 v17, 0xbf788fa5, v74
	v_fma_f32 v16, v73, s17, -v16
	v_mov_b32_e32 v18, v17
	v_add_f32_e32 v22, v16, v20
	v_fmac_f32_e32 v17, 0xbe750f2a, v75
	v_mul_f32_e32 v16, 0x3eedf032, v76
	v_add_f32_e32 v23, v17, v30
	v_mov_b32_e32 v17, v16
	v_fmac_f32_e32 v17, 0x3f62ad3f, v73
	v_fmac_f32_e32 v18, 0x3e750f2a, v75
	v_add_f32_e32 v28, v17, v33
	v_mul_f32_e32 v17, 0x3f62ad3f, v74
	v_fma_f32 v16, v73, s14, -v16
	v_add_f32_e32 v27, v18, v31
	v_mov_b32_e32 v18, v17
	v_add_f32_e32 v20, v16, v32
	v_fmac_f32_e32 v17, 0x3eedf032, v75
	v_mul_f32_e32 v16, 0xbf29c268, v76
	v_add_f32_e32 v21, v17, v34
	v_mov_b32_e32 v17, v16
	v_fmac_f32_e32 v17, 0xbf3f9e67, v73
	v_fmac_f32_e32 v18, 0xbeedf032, v75
	v_add_f32_e32 v30, v17, v37
	v_mul_f32_e32 v17, 0xbf3f9e67, v74
	v_add_f32_e32 v68, v68, v72
	v_add_f32_e32 v72, v29, v19
	;; [unrolled: 1-line block ×3, first 2 shown]
	v_mov_b32_e32 v18, v17
	v_fmac_f32_e32 v18, 0x3f29c268, v75
	v_fma_f32 v16, v73, s16, -v16
	v_add_f32_e32 v31, v18, v60
	v_add_f32_e32 v18, v16, v35
	v_fmac_f32_e32 v17, 0xbf29c268, v75
	v_mul_f32_e32 v16, 0x3f52af12, v76
	v_add_f32_e32 v19, v17, v38
	v_mov_b32_e32 v17, v16
	v_fmac_f32_e32 v17, 0x3f116cb1, v73
	v_add_f32_e32 v32, v17, v61
	v_mul_f32_e32 v17, 0x3f116cb1, v74
	v_fma_f32 v16, v73, s13, -v16
	v_mul_f32_e32 v36, 0xbf6f5d39, v76
	v_mul_f32_e32 v37, 0xbeb58ec6, v74
	;; [unrolled: 1-line block ×4, first 2 shown]
	v_mov_b32_e32 v33, v17
	v_add_f32_e32 v16, v16, v39
	v_mov_b32_e32 v34, v36
	v_mov_b32_e32 v35, v37
	;; [unrolled: 1-line block ×4, first 2 shown]
	v_fmac_f32_e32 v33, 0xbf52af12, v75
	v_fmac_f32_e32 v17, 0x3f52af12, v75
	;; [unrolled: 1-line block ×4, first 2 shown]
	v_fma_f32 v36, v73, s15, -v36
	v_fmac_f32_e32 v37, 0xbf6f5d39, v75
	v_fmac_f32_e32 v38, 0x3df6dbef, v73
	;; [unrolled: 1-line block ×3, first 2 shown]
	v_fma_f32 v60, v73, s12, -v60
	v_fmac_f32_e32 v61, 0x3f7e222b, v75
	v_add_f32_e32 v33, v33, v65
	v_add_f32_e32 v17, v17, v63
	;; [unrolled: 1-line block ×10, first 2 shown]
	v_add_u32_e32 v65, 0xd00, v105
	v_add_u32_e32 v64, 0x1b00, v105
	;; [unrolled: 1-line block ×3, first 2 shown]
	s_barrier
	ds_write2_b64 v107, v[24:25], v[26:27] offset1:17
	ds_write2_b64 v107, v[28:29], v[30:31] offset0:34 offset1:51
	ds_write2_b64 v107, v[32:33], v[34:35] offset0:68 offset1:85
	;; [unrolled: 1-line block ×5, first 2 shown]
	ds_write_b64 v107, v[22:23] offset:1632
	s_waitcnt lgkmcnt(0)
	s_barrier
	ds_read2_b64 v[24:27], v105 offset1:221
	ds_read2_b64 v[36:39], v65 offset0:26 offset1:247
	ds_read2_b64 v[32:35], v64 offset0:20 offset1:241
	;; [unrolled: 1-line block ×3, first 2 shown]
	ds_read_b64 v[60:61], v105 offset:14144
	s_and_saveexec_b64 s[12:13], s[2:3]
	s_cbranch_execz .LBB0_19
; %bb.18:
	v_add_u32_e32 v20, 0x2000, v105
	v_add_u32_e32 v16, 0x400, v105
	ds_read2_b64 v[66:69], v20 offset0:13 offset1:234
	v_add_u32_e32 v20, 0x1200, v105
	ds_read2_b64 v[16:19], v16 offset0:25 offset1:246
	ds_read2_b64 v[56:59], v62 offset0:7 offset1:228
	ds_read2_b64 v[20:23], v20 offset0:19 offset1:240
	ds_read_b64 v[93:94], v105 offset:15368
	s_waitcnt lgkmcnt(4)
	v_mov_b32_e32 v95, v68
	v_mov_b32_e32 v96, v69
	;; [unrolled: 1-line block ×4, first 2 shown]
.LBB0_19:
	s_or_b64 exec, exec, s[12:13]
	s_waitcnt lgkmcnt(4)
	v_mul_f32_e32 v62, v53, v27
	v_fmac_f32_e32 v62, v52, v26
	v_mul_f32_e32 v26, v53, v26
	v_fma_f32 v26, v52, v27, -v26
	s_waitcnt lgkmcnt(3)
	v_mul_f32_e32 v27, v55, v37
	v_fmac_f32_e32 v27, v54, v36
	v_mul_f32_e32 v36, v55, v36
	v_fma_f32 v36, v54, v37, -v36
	v_mul_f32_e32 v37, v49, v39
	v_fmac_f32_e32 v37, v48, v38
	v_mul_f32_e32 v38, v49, v38
	v_fma_f32 v38, v48, v39, -v38
	s_waitcnt lgkmcnt(2)
	v_mul_f32_e32 v39, v51, v33
	v_fmac_f32_e32 v39, v50, v32
	v_mul_f32_e32 v32, v51, v32
	v_fma_f32 v48, v50, v33, -v32
	v_mul_f32_e32 v49, v45, v35
	v_mul_f32_e32 v32, v45, v34
	v_fmac_f32_e32 v49, v44, v34
	v_fma_f32 v44, v44, v35, -v32
	s_waitcnt lgkmcnt(1)
	v_mul_f32_e32 v32, v47, v29
	v_fmac_f32_e32 v32, v46, v28
	v_mul_f32_e32 v28, v47, v28
	v_fma_f32 v28, v46, v29, -v28
	v_mul_f32_e32 v29, v41, v31
	v_fmac_f32_e32 v29, v40, v30
	v_mul_f32_e32 v30, v41, v30
	v_fma_f32 v30, v40, v31, -v30
	s_waitcnt lgkmcnt(0)
	v_mul_f32_e32 v31, v43, v61
	v_fmac_f32_e32 v31, v42, v60
	v_mul_f32_e32 v33, v43, v60
	v_fma_f32 v33, v42, v61, -v33
	v_sub_f32_e32 v47, v62, v31
	v_add_f32_e32 v42, v27, v29
	v_sub_f32_e32 v50, v26, v33
	v_sub_f32_e32 v51, v27, v29
	v_mul_f32_e32 v29, 0x3f248dbb, v47
	v_sub_f32_e32 v54, v39, v49
	v_add_f32_e32 v41, v26, v33
	v_add_f32_e32 v46, v38, v28
	v_sub_f32_e32 v52, v36, v30
	v_sub_f32_e32 v53, v37, v32
	;; [unrolled: 1-line block ×3, first 2 shown]
	v_mul_f32_e32 v28, 0x3f248dbb, v50
	v_fmac_f32_e32 v29, 0x3f7c1c5c, v51
	v_sub_f32_e32 v55, v48, v44
	v_mul_f32_e32 v33, 0xbf248dbb, v54
	v_add_f32_e32 v45, v37, v32
	v_fmac_f32_e32 v28, 0x3f7c1c5c, v52
	v_fmac_f32_e32 v29, 0x3f5db3d7, v53
	v_mul_f32_e32 v32, 0xbf248dbb, v55
	v_fmac_f32_e32 v33, 0x3f7c1c5c, v47
	v_fmac_f32_e32 v28, 0x3f5db3d7, v38
	;; [unrolled: 1-line block ×3, first 2 shown]
	s_mov_b32 s14, 0xbf248dbb
	v_fmac_f32_e32 v32, 0x3f7c1c5c, v50
	v_fmac_f32_e32 v33, 0xbf5db3d7, v53
	v_add_f32_e32 v34, v54, v47
	v_mul_f32_e32 v54, 0x3f7c1c5c, v54
	v_add_f32_e32 v40, v62, v31
	v_add_f32_e32 v43, v36, v30
	v_fmac_f32_e32 v28, 0x3eaf1d44, v55
	v_fmac_f32_e32 v32, 0xbf5db3d7, v38
	v_fmac_f32_e32 v33, 0x3eaf1d44, v51
	v_add_f32_e32 v35, v55, v50
	v_sub_f32_e32 v36, v34, v51
	v_mul_f32_e32 v55, 0x3f7c1c5c, v55
	v_fma_f32 v51, v51, s14, -v54
	v_fmac_f32_e32 v32, 0x3eaf1d44, v52
	v_sub_f32_e32 v37, v35, v52
	v_add_f32_e32 v67, v42, v40
	v_add_f32_e32 v68, v43, v41
	v_fma_f32 v52, v52, s14, -v55
	v_fmac_f32_e32 v51, 0x3f5db3d7, v53
	v_fmac_f32_e32 v52, 0x3f5db3d7, v38
	;; [unrolled: 1-line block ×3, first 2 shown]
	v_add_f32_e32 v38, v45, v67
	v_add_f32_e32 v47, v46, v68
	;; [unrolled: 1-line block ×5, first 2 shown]
	v_mov_b32_e32 v26, v24
	v_mov_b32_e32 v27, v25
	v_add_f32_e32 v38, v49, v38
	v_add_f32_e32 v39, v44, v39
	v_fmac_f32_e32 v26, 0x3f441b7d, v40
	v_fmac_f32_e32 v27, 0x3f441b7d, v41
	v_add_f32_e32 v61, v48, v44
	v_mov_b32_e32 v30, v24
	v_mov_b32_e32 v31, v25
	v_add_f32_e32 v34, v45, v24
	v_add_f32_e32 v35, v46, v25
	;; [unrolled: 1-line block ×4, first 2 shown]
	v_fmac_f32_e32 v24, 0x3f441b7d, v42
	v_fmac_f32_e32 v25, 0x3f441b7d, v43
	v_fmac_f32_e32 v26, 0x3e31d0d4, v42
	v_fmac_f32_e32 v27, 0x3e31d0d4, v43
	v_fmac_f32_e32 v30, 0x3f441b7d, v60
	v_fmac_f32_e32 v31, 0x3f441b7d, v61
	v_fmac_f32_e32 v24, 0x3e31d0d4, v60
	v_fmac_f32_e32 v25, 0x3e31d0d4, v61
	v_fmac_f32_e32 v26, -0.5, v45
	v_fmac_f32_e32 v27, -0.5, v46
	v_fmac_f32_e32 v30, 0x3e31d0d4, v40
	v_fmac_f32_e32 v31, 0x3e31d0d4, v41
	v_fmac_f32_e32 v24, -0.5, v45
	v_fmac_f32_e32 v25, -0.5, v46
	v_fmac_f32_e32 v26, 0xbf708fb2, v60
	v_fmac_f32_e32 v27, 0xbf708fb2, v61
	v_fmac_f32_e32 v30, -0.5, v45
	v_fmac_f32_e32 v31, -0.5, v46
	v_add_f32_e32 v69, v60, v67
	v_add_f32_e32 v70, v61, v68
	v_fmac_f32_e32 v52, 0x3eaf1d44, v50
	v_fmac_f32_e32 v24, 0xbf708fb2, v40
	;; [unrolled: 1-line block ×3, first 2 shown]
	v_sub_f32_e32 v26, v26, v28
	v_add_f32_e32 v27, v29, v27
	v_fmac_f32_e32 v30, 0xbf708fb2, v42
	v_fmac_f32_e32 v31, 0xbf708fb2, v43
	v_fmac_f32_e32 v34, -0.5, v69
	v_fmac_f32_e32 v35, -0.5, v70
	v_sub_f32_e32 v24, v24, v52
	v_add_f32_e32 v25, v51, v25
	v_fma_f32 v28, 2.0, v28, v26
	v_fma_f32 v29, -2.0, v29, v27
	v_sub_f32_e32 v30, v30, v32
	v_add_f32_e32 v31, v33, v31
	v_fmac_f32_e32 v34, 0xbf5db3d7, v37
	v_fmac_f32_e32 v35, 0x3f5db3d7, v36
	ds_write2_b64 v105, v[38:39], v[26:27] offset1:221
	ds_write2_b64 v65, v[30:31], v[34:35] offset0:26 offset1:247
	v_mov_b32_e32 v27, v25
	v_mov_b32_e32 v26, v24
	v_mul_f32_e32 v62, 0x3f5db3d7, v36
	v_mul_f32_e32 v66, 0x3f5db3d7, v37
	v_fmac_f32_e32 v27, -2.0, v51
	v_fmac_f32_e32 v26, 2.0, v52
	v_fma_f32 v32, 2.0, v32, v30
	v_fma_f32 v33, -2.0, v33, v31
	v_fma_f32 v36, 2.0, v66, v34
	v_fma_f32 v37, -2.0, v62, v35
	ds_write2_b64 v64, v[24:25], v[26:27] offset0:20 offset1:241
	ds_write2_b64 v63, v[36:37], v[32:33] offset0:14 offset1:235
	ds_write_b64 v105, v[28:29] offset:14144
	s_and_saveexec_b64 s[12:13], s[2:3]
	s_cbranch_execz .LBB0_21
; %bb.20:
	v_mul_f32_e32 v24, v1, v19
	v_mul_f32_e32 v25, v7, v94
	;; [unrolled: 1-line block ×11, first 2 shown]
	v_fmac_f32_e32 v24, v0, v18
	v_fmac_f32_e32 v25, v6, v93
	v_mul_f32_e32 v27, v9, v23
	v_fmac_f32_e32 v30, v2, v20
	v_fmac_f32_e32 v31, v4, v58
	;; [unrolled: 1-line block ×4, first 2 shown]
	v_fma_f32 v4, v4, v59, -v5
	v_fma_f32 v2, v2, v21, -v3
	v_mul_f32_e32 v5, v13, v95
	v_fma_f32 v10, v10, v98, -v11
	v_mul_f32_e32 v11, v15, v56
	v_mul_f32_e32 v9, v9, v22
	v_fma_f32 v6, v6, v94, -v7
	v_fma_f32 v0, v0, v19, -v1
	v_sub_f32_e32 v26, v24, v25
	v_fmac_f32_e32 v27, v8, v22
	v_mul_f32_e32 v28, v15, v57
	v_sub_f32_e32 v35, v33, v34
	v_add_f32_e32 v20, v4, v2
	v_fma_f32 v5, v12, v96, -v5
	v_fma_f32 v11, v14, v57, -v11
	;; [unrolled: 1-line block ×3, first 2 shown]
	v_add_f32_e32 v15, v6, v0
	v_fmac_f32_e32 v28, v14, v56
	v_sub_f32_e32 v32, v30, v31
	v_add_f32_e32 v21, v5, v10
	v_add_f32_e32 v14, v11, v8
	v_sub_f32_e32 v18, v0, v6
	v_add_f32_e32 v6, v20, v15
	v_add_f32_e32 v7, v35, v26
	v_sub_f32_e32 v22, v2, v4
	v_add_f32_e32 v4, v14, v6
	v_sub_f32_e32 v9, v7, v32
	v_add_f32_e32 v7, v14, v17
	v_add_f32_e32 v6, v21, v6
	v_sub_f32_e32 v23, v10, v5
	v_add_f32_e32 v30, v31, v30
	v_add_f32_e32 v24, v25, v24
	;; [unrolled: 1-line block ×3, first 2 shown]
	v_fmac_f32_e32 v7, -0.5, v6
	v_sub_f32_e32 v29, v27, v28
	v_sub_f32_e32 v19, v8, v11
	v_add_f32_e32 v31, v34, v33
	v_add_f32_e32 v27, v28, v27
	;; [unrolled: 1-line block ×4, first 2 shown]
	v_mul_f32_e32 v10, 0x3f5db3d7, v9
	v_fmac_f32_e32 v7, 0x3f5db3d7, v9
	v_add_f32_e32 v6, v23, v18
	v_add_f32_e32 v5, v17, v4
	;; [unrolled: 1-line block ×3, first 2 shown]
	v_fma_f32 v9, -2.0, v10, v7
	v_sub_f32_e32 v10, v6, v22
	v_add_f32_e32 v6, v27, v16
	v_add_f32_e32 v8, v31, v8
	v_fmac_f32_e32 v6, -0.5, v8
	v_mul_f32_e32 v11, 0x3f5db3d7, v10
	v_fmac_f32_e32 v6, 0xbf5db3d7, v10
	v_fma_f32 v8, 2.0, v11, v6
	v_mov_b32_e32 v11, v17
	v_mul_f32_e32 v10, 0xbf248dbb, v35
	v_fmac_f32_e32 v11, 0x3f441b7d, v21
	v_fmac_f32_e32 v10, 0x3f7c1c5c, v26
	;; [unrolled: 1-line block ×3, first 2 shown]
	v_mul_f32_e32 v0, 0x3f7c1c5c, v23
	v_fmac_f32_e32 v10, 0xbf5db3d7, v29
	v_fmac_f32_e32 v11, -0.5, v14
	v_fma_f32 v2, v22, s14, -v0
	v_add_f32_e32 v4, v33, v4
	v_fmac_f32_e32 v10, 0x3eaf1d44, v32
	v_fmac_f32_e32 v11, 0xbf708fb2, v20
	;; [unrolled: 1-line block ×3, first 2 shown]
	v_add_f32_e32 v4, v34, v4
	v_add_f32_e32 v11, v10, v11
	v_mul_f32_e32 v12, 0xbf248dbb, v23
	v_fmac_f32_e32 v2, 0x3eaf1d44, v18
	v_mov_b32_e32 v0, v16
	v_add_f32_e32 v4, v16, v4
	v_fma_f32 v13, -2.0, v10, v11
	v_fmac_f32_e32 v12, 0x3f7c1c5c, v18
	v_mov_b32_e32 v10, v16
	v_mul_f32_e32 v18, 0x3f248dbb, v18
	v_fmac_f32_e32 v16, 0x3f441b7d, v24
	v_mov_b32_e32 v3, v17
	v_fmac_f32_e32 v18, 0x3f7c1c5c, v22
	v_fmac_f32_e32 v16, 0x3e31d0d4, v30
	;; [unrolled: 1-line block ×3, first 2 shown]
	v_mul_f32_e32 v25, 0x3f248dbb, v26
	v_fmac_f32_e32 v17, 0x3f441b7d, v15
	v_fmac_f32_e32 v18, 0x3f5db3d7, v19
	v_fmac_f32_e32 v16, -0.5, v27
	v_mul_f32_e32 v36, 0x3f7c1c5c, v35
	v_fmac_f32_e32 v3, 0x3e31d0d4, v21
	v_fmac_f32_e32 v0, 0x3f441b7d, v30
	;; [unrolled: 1-line block ×7, first 2 shown]
	v_fma_f32 v36, v32, s14, -v36
	v_fmac_f32_e32 v3, -0.5, v14
	v_fmac_f32_e32 v0, 0x3e31d0d4, v31
	v_fmac_f32_e32 v10, 0x3e31d0d4, v24
	;; [unrolled: 1-line block ×3, first 2 shown]
	v_fmac_f32_e32 v17, -0.5, v14
	v_sub_f32_e32 v14, v16, v18
	v_fmac_f32_e32 v36, 0x3f5db3d7, v29
	v_fmac_f32_e32 v0, -0.5, v27
	v_fmac_f32_e32 v12, 0xbf5db3d7, v19
	v_fmac_f32_e32 v10, -0.5, v27
	v_fmac_f32_e32 v25, 0x3eaf1d44, v35
	v_fmac_f32_e32 v17, 0xbf708fb2, v21
	v_mov_b32_e32 v16, v14
	v_fmac_f32_e32 v36, 0x3eaf1d44, v26
	v_fmac_f32_e32 v3, 0xbf708fb2, v15
	;; [unrolled: 1-line block ×5, first 2 shown]
	v_add_f32_e32 v15, v25, v17
	v_fmac_f32_e32 v16, 2.0, v18
	v_add_u32_e32 v18, 0x400, v105
	v_add_f32_e32 v1, v36, v3
	v_sub_f32_e32 v0, v0, v2
	v_sub_f32_e32 v10, v10, v12
	ds_write2_b64 v18, v[4:5], v[14:15] offset0:25 offset1:246
	v_add_u32_e32 v4, 0x1200, v105
	v_fma_f32 v3, -2.0, v36, v1
	v_fma_f32 v2, 2.0, v2, v0
	ds_write2_b64 v4, v[10:11], v[6:7] offset0:19 offset1:240
	v_add_u32_e32 v4, 0x2000, v105
	v_fma_f32 v12, 2.0, v12, v10
	ds_write2_b64 v4, v[0:1], v[2:3] offset0:13 offset1:234
	v_add_u32_e32 v0, 0x2e00, v105
	v_fma_f32 v17, -2.0, v25, v15
	ds_write2_b64 v0, v[8:9], v[12:13] offset0:7 offset1:228
	ds_write_b64 v105, v[16:17] offset:15368
.LBB0_21:
	s_or_b64 exec, exec, s[12:13]
	s_waitcnt lgkmcnt(0)
	s_barrier
	s_and_b64 exec, exec, s[0:1]
	s_cbranch_execz .LBB0_23
; %bb.22:
	global_load_dwordx2 v[0:1], v105, s[8:9]
	ds_read_b64 v[2:3], v105
	v_mad_u64_u32 v[4:5], s[0:1], s6, v196, 0
	v_mad_u64_u32 v[6:7], s[0:1], s4, v197, 0
	s_mov_b32 s0, 0x10798010
	s_mov_b32 s1, 0x3f407980
	v_mad_u64_u32 v[8:9], s[2:3], s7, v196, v[5:6]
	v_mov_b32_e32 v11, s11
	v_mad_u64_u32 v[9:10], s[2:3], s5, v197, v[7:8]
	s_mul_i32 s3, s5, 0x3a8
	s_mul_hi_u32 s5, s4, 0x3a8
	v_mov_b32_e32 v7, v9
	v_lshlrev_b64 v[6:7], 3, v[6:7]
	s_mul_i32 s2, s4, 0x3a8
	s_add_i32 s3, s5, s3
	s_movk_i32 s4, 0x1000
	s_waitcnt vmcnt(0) lgkmcnt(0)
	v_mul_f32_e32 v5, v3, v1
	v_mul_f32_e32 v1, v2, v1
	v_fmac_f32_e32 v5, v2, v0
	v_fma_f32 v2, v0, v3, -v1
	v_cvt_f64_f32_e32 v[0:1], v5
	v_cvt_f64_f32_e32 v[2:3], v2
	v_mov_b32_e32 v5, v8
	v_lshlrev_b64 v[4:5], 3, v[4:5]
	v_mul_f64 v[0:1], v[0:1], s[0:1]
	v_mul_f64 v[2:3], v[2:3], s[0:1]
	v_add_co_u32_e32 v4, vcc, s10, v4
	v_addc_co_u32_e32 v5, vcc, v11, v5, vcc
	v_add_co_u32_e32 v4, vcc, v4, v6
	v_cvt_f32_f64_e32 v0, v[0:1]
	v_cvt_f32_f64_e32 v1, v[2:3]
	v_addc_co_u32_e32 v5, vcc, v5, v7, vcc
	global_store_dwordx2 v[4:5], v[0:1], off
	global_load_dwordx2 v[6:7], v105, s[8:9] offset:936
	ds_read2_b64 v[0:3], v105 offset0:117 offset1:234
	v_add_co_u32_e32 v4, vcc, s2, v4
	s_waitcnt vmcnt(0) lgkmcnt(0)
	v_mul_f32_e32 v8, v1, v7
	v_mul_f32_e32 v7, v0, v7
	v_fmac_f32_e32 v8, v0, v6
	v_fma_f32 v6, v6, v1, -v7
	v_cvt_f64_f32_e32 v[0:1], v8
	v_cvt_f64_f32_e32 v[6:7], v6
	v_mov_b32_e32 v8, s3
	v_addc_co_u32_e32 v5, vcc, v5, v8, vcc
	v_mul_f64 v[0:1], v[0:1], s[0:1]
	v_mul_f64 v[6:7], v[6:7], s[0:1]
	v_cvt_f32_f64_e32 v0, v[0:1]
	v_cvt_f32_f64_e32 v1, v[6:7]
	global_store_dwordx2 v[4:5], v[0:1], off
	global_load_dwordx2 v[0:1], v105, s[8:9] offset:1872
	v_add_co_u32_e32 v4, vcc, s2, v4
	s_waitcnt vmcnt(0)
	v_mul_f32_e32 v6, v3, v1
	v_mul_f32_e32 v1, v2, v1
	v_fmac_f32_e32 v6, v2, v0
	v_fma_f32 v2, v0, v3, -v1
	v_cvt_f64_f32_e32 v[0:1], v6
	v_cvt_f64_f32_e32 v[2:3], v2
	v_mov_b32_e32 v6, s3
	v_addc_co_u32_e32 v5, vcc, v5, v6, vcc
	v_mul_f64 v[0:1], v[0:1], s[0:1]
	v_mul_f64 v[2:3], v[2:3], s[0:1]
	v_cvt_f32_f64_e32 v0, v[0:1]
	v_cvt_f32_f64_e32 v1, v[2:3]
	global_store_dwordx2 v[4:5], v[0:1], off
	global_load_dwordx2 v[6:7], v105, s[8:9] offset:2808
	v_add_u32_e32 v0, 0x800, v105
	ds_read2_b64 v[0:3], v0 offset0:95 offset1:212
	v_add_co_u32_e32 v4, vcc, s2, v4
	s_waitcnt vmcnt(0) lgkmcnt(0)
	v_mul_f32_e32 v8, v1, v7
	v_mul_f32_e32 v7, v0, v7
	v_fmac_f32_e32 v8, v0, v6
	v_fma_f32 v6, v6, v1, -v7
	v_cvt_f64_f32_e32 v[0:1], v8
	v_cvt_f64_f32_e32 v[6:7], v6
	v_mov_b32_e32 v8, s3
	v_addc_co_u32_e32 v5, vcc, v5, v8, vcc
	v_mul_f64 v[0:1], v[0:1], s[0:1]
	v_mul_f64 v[6:7], v[6:7], s[0:1]
	v_add_co_u32_e32 v10, vcc, s8, v105
	v_cvt_f32_f64_e32 v0, v[0:1]
	v_cvt_f32_f64_e32 v1, v[6:7]
	global_store_dwordx2 v[4:5], v[0:1], off
	global_load_dwordx2 v[0:1], v105, s[8:9] offset:3744
	s_waitcnt vmcnt(0)
	v_mul_f32_e32 v6, v3, v1
	v_mul_f32_e32 v1, v2, v1
	v_fmac_f32_e32 v6, v2, v0
	v_fma_f32 v2, v0, v3, -v1
	v_cvt_f64_f32_e32 v[0:1], v6
	v_cvt_f64_f32_e32 v[2:3], v2
	v_mov_b32_e32 v6, s9
	v_addc_co_u32_e32 v11, vcc, 0, v6, vcc
	v_mul_f64 v[0:1], v[0:1], s[0:1]
	v_mul_f64 v[2:3], v[2:3], s[0:1]
	v_add_co_u32_e32 v6, vcc, s4, v10
	v_addc_co_u32_e32 v7, vcc, 0, v11, vcc
	v_add_co_u32_e32 v4, vcc, s2, v4
	v_cvt_f32_f64_e32 v0, v[0:1]
	v_cvt_f32_f64_e32 v1, v[2:3]
	v_addc_co_u32_e32 v5, vcc, v5, v8, vcc
	s_movk_i32 s4, 0x2000
	global_store_dwordx2 v[4:5], v[0:1], off
	global_load_dwordx2 v[8:9], v[6:7], off offset:584
	v_add_u32_e32 v0, 0x1000, v105
	ds_read2_b64 v[0:3], v0 offset0:73 offset1:190
	v_add_co_u32_e32 v4, vcc, s2, v4
	s_waitcnt vmcnt(0) lgkmcnt(0)
	v_mul_f32_e32 v12, v1, v9
	v_mul_f32_e32 v9, v0, v9
	v_fmac_f32_e32 v12, v0, v8
	v_fma_f32 v8, v8, v1, -v9
	v_cvt_f64_f32_e32 v[0:1], v12
	v_cvt_f64_f32_e32 v[8:9], v8
	v_mov_b32_e32 v12, s3
	v_addc_co_u32_e32 v5, vcc, v5, v12, vcc
	v_mul_f64 v[0:1], v[0:1], s[0:1]
	v_mul_f64 v[8:9], v[8:9], s[0:1]
	v_cvt_f32_f64_e32 v0, v[0:1]
	v_cvt_f32_f64_e32 v1, v[8:9]
	global_store_dwordx2 v[4:5], v[0:1], off
	global_load_dwordx2 v[0:1], v[6:7], off offset:1520
	v_add_co_u32_e32 v4, vcc, s2, v4
	s_waitcnt vmcnt(0)
	v_mul_f32_e32 v8, v3, v1
	v_mul_f32_e32 v1, v2, v1
	v_fmac_f32_e32 v8, v2, v0
	v_fma_f32 v2, v0, v3, -v1
	v_cvt_f64_f32_e32 v[0:1], v8
	v_cvt_f64_f32_e32 v[2:3], v2
	v_mov_b32_e32 v8, s3
	v_addc_co_u32_e32 v5, vcc, v5, v8, vcc
	v_mul_f64 v[0:1], v[0:1], s[0:1]
	v_mul_f64 v[2:3], v[2:3], s[0:1]
	v_cvt_f32_f64_e32 v0, v[0:1]
	v_cvt_f32_f64_e32 v1, v[2:3]
	global_store_dwordx2 v[4:5], v[0:1], off
	global_load_dwordx2 v[8:9], v[6:7], off offset:2456
	v_add_u32_e32 v0, 0x1800, v105
	ds_read2_b64 v[0:3], v0 offset0:51 offset1:168
	v_add_co_u32_e32 v4, vcc, s2, v4
	s_waitcnt vmcnt(0) lgkmcnt(0)
	v_mul_f32_e32 v12, v1, v9
	v_mul_f32_e32 v9, v0, v9
	v_fmac_f32_e32 v12, v0, v8
	v_fma_f32 v8, v8, v1, -v9
	v_cvt_f64_f32_e32 v[0:1], v12
	v_cvt_f64_f32_e32 v[8:9], v8
	v_mov_b32_e32 v12, s3
	v_addc_co_u32_e32 v5, vcc, v5, v12, vcc
	v_mul_f64 v[0:1], v[0:1], s[0:1]
	v_mul_f64 v[8:9], v[8:9], s[0:1]
	v_cvt_f32_f64_e32 v0, v[0:1]
	v_cvt_f32_f64_e32 v1, v[8:9]
	v_mov_b32_e32 v8, s3
	global_store_dwordx2 v[4:5], v[0:1], off
	global_load_dwordx2 v[0:1], v[6:7], off offset:3392
	s_waitcnt vmcnt(0)
	v_mul_f32_e32 v6, v3, v1
	v_mul_f32_e32 v1, v2, v1
	v_fmac_f32_e32 v6, v2, v0
	v_fma_f32 v2, v0, v3, -v1
	v_cvt_f64_f32_e32 v[0:1], v6
	v_cvt_f64_f32_e32 v[2:3], v2
	v_add_co_u32_e32 v6, vcc, s4, v10
	v_mul_f64 v[0:1], v[0:1], s[0:1]
	v_mul_f64 v[2:3], v[2:3], s[0:1]
	v_addc_co_u32_e32 v7, vcc, 0, v11, vcc
	v_add_co_u32_e32 v4, vcc, s2, v4
	v_addc_co_u32_e32 v5, vcc, v5, v8, vcc
	v_cvt_f32_f64_e32 v0, v[0:1]
	v_cvt_f32_f64_e32 v1, v[2:3]
	s_movk_i32 s4, 0x3000
	global_store_dwordx2 v[4:5], v[0:1], off
	global_load_dwordx2 v[8:9], v[6:7], off offset:232
	v_add_u32_e32 v0, 0x2000, v105
	ds_read2_b64 v[0:3], v0 offset0:29 offset1:146
	v_add_co_u32_e32 v4, vcc, s2, v4
	s_waitcnt vmcnt(0) lgkmcnt(0)
	v_mul_f32_e32 v12, v1, v9
	v_mul_f32_e32 v9, v0, v9
	v_fmac_f32_e32 v12, v0, v8
	v_fma_f32 v8, v8, v1, -v9
	v_cvt_f64_f32_e32 v[0:1], v12
	v_cvt_f64_f32_e32 v[8:9], v8
	v_mov_b32_e32 v12, s3
	v_addc_co_u32_e32 v5, vcc, v5, v12, vcc
	v_mul_f64 v[0:1], v[0:1], s[0:1]
	v_mul_f64 v[8:9], v[8:9], s[0:1]
	v_cvt_f32_f64_e32 v0, v[0:1]
	v_cvt_f32_f64_e32 v1, v[8:9]
	global_store_dwordx2 v[4:5], v[0:1], off
	global_load_dwordx2 v[0:1], v[6:7], off offset:1168
	v_add_co_u32_e32 v4, vcc, s2, v4
	s_waitcnt vmcnt(0)
	v_mul_f32_e32 v8, v3, v1
	v_mul_f32_e32 v1, v2, v1
	v_fmac_f32_e32 v8, v2, v0
	v_fma_f32 v2, v0, v3, -v1
	v_cvt_f64_f32_e32 v[0:1], v8
	v_cvt_f64_f32_e32 v[2:3], v2
	v_mov_b32_e32 v8, s3
	v_addc_co_u32_e32 v5, vcc, v5, v8, vcc
	v_mul_f64 v[0:1], v[0:1], s[0:1]
	v_mul_f64 v[2:3], v[2:3], s[0:1]
	v_cvt_f32_f64_e32 v0, v[0:1]
	v_cvt_f32_f64_e32 v1, v[2:3]
	global_store_dwordx2 v[4:5], v[0:1], off
	global_load_dwordx2 v[8:9], v[6:7], off offset:2104
	v_add_u32_e32 v0, 0x2800, v105
	ds_read2_b64 v[0:3], v0 offset0:7 offset1:124
	v_add_co_u32_e32 v4, vcc, s2, v4
	s_waitcnt vmcnt(0) lgkmcnt(0)
	v_mul_f32_e32 v12, v1, v9
	v_mul_f32_e32 v9, v0, v9
	v_fmac_f32_e32 v12, v0, v8
	v_fma_f32 v8, v8, v1, -v9
	v_cvt_f64_f32_e32 v[0:1], v12
	v_cvt_f64_f32_e32 v[8:9], v8
	v_mov_b32_e32 v12, s3
	v_addc_co_u32_e32 v5, vcc, v5, v12, vcc
	v_mul_f64 v[0:1], v[0:1], s[0:1]
	v_mul_f64 v[8:9], v[8:9], s[0:1]
	v_cvt_f32_f64_e32 v0, v[0:1]
	v_cvt_f32_f64_e32 v1, v[8:9]
	global_store_dwordx2 v[4:5], v[0:1], off
	global_load_dwordx2 v[0:1], v[6:7], off offset:3040
	v_add_co_u32_e32 v4, vcc, s2, v4
	s_waitcnt vmcnt(0)
	v_mul_f32_e32 v8, v3, v1
	v_mul_f32_e32 v1, v2, v1
	v_fmac_f32_e32 v8, v2, v0
	v_fma_f32 v2, v0, v3, -v1
	v_cvt_f64_f32_e32 v[0:1], v8
	v_cvt_f64_f32_e32 v[2:3], v2
	v_mov_b32_e32 v8, s3
	v_addc_co_u32_e32 v5, vcc, v5, v8, vcc
	v_mul_f64 v[0:1], v[0:1], s[0:1]
	v_mul_f64 v[2:3], v[2:3], s[0:1]
	v_cvt_f32_f64_e32 v0, v[0:1]
	v_cvt_f32_f64_e32 v1, v[2:3]
	global_store_dwordx2 v[4:5], v[0:1], off
	global_load_dwordx2 v[6:7], v[6:7], off offset:3976
	v_add_u32_e32 v0, 0x2c00, v105
	ds_read2_b64 v[0:3], v0 offset0:113 offset1:230
	s_waitcnt vmcnt(0) lgkmcnt(0)
	v_mul_f32_e32 v8, v1, v7
	v_mul_f32_e32 v7, v0, v7
	v_fmac_f32_e32 v8, v0, v6
	v_fma_f32 v6, v6, v1, -v7
	v_cvt_f64_f32_e32 v[0:1], v8
	v_cvt_f64_f32_e32 v[6:7], v6
	v_add_co_u32_e32 v8, vcc, s4, v10
	v_mul_f64 v[0:1], v[0:1], s[0:1]
	v_mul_f64 v[6:7], v[6:7], s[0:1]
	v_addc_co_u32_e32 v9, vcc, 0, v11, vcc
	v_add_co_u32_e32 v4, vcc, s2, v4
	v_addc_co_u32_e32 v5, vcc, v5, v12, vcc
	v_cvt_f32_f64_e32 v0, v[0:1]
	v_cvt_f32_f64_e32 v1, v[6:7]
	global_store_dwordx2 v[4:5], v[0:1], off
	global_load_dwordx2 v[0:1], v[8:9], off offset:816
	v_add_co_u32_e32 v4, vcc, s2, v4
	s_waitcnt vmcnt(0)
	v_mul_f32_e32 v6, v3, v1
	v_mul_f32_e32 v1, v2, v1
	v_fmac_f32_e32 v6, v2, v0
	v_fma_f32 v2, v0, v3, -v1
	v_cvt_f64_f32_e32 v[0:1], v6
	v_cvt_f64_f32_e32 v[2:3], v2
	v_mov_b32_e32 v6, s3
	v_addc_co_u32_e32 v5, vcc, v5, v6, vcc
	v_mul_f64 v[0:1], v[0:1], s[0:1]
	v_mul_f64 v[2:3], v[2:3], s[0:1]
	v_cvt_f32_f64_e32 v0, v[0:1]
	v_cvt_f32_f64_e32 v1, v[2:3]
	global_store_dwordx2 v[4:5], v[0:1], off
	global_load_dwordx2 v[6:7], v[8:9], off offset:1752
	v_add_u32_e32 v0, 0x3400, v105
	ds_read2_b64 v[0:3], v0 offset0:91 offset1:208
	v_add_co_u32_e32 v4, vcc, s2, v4
	s_waitcnt vmcnt(0) lgkmcnt(0)
	v_mul_f32_e32 v10, v1, v7
	v_mul_f32_e32 v7, v0, v7
	v_fmac_f32_e32 v10, v0, v6
	v_fma_f32 v6, v6, v1, -v7
	v_cvt_f64_f32_e32 v[0:1], v10
	v_cvt_f64_f32_e32 v[6:7], v6
	v_mov_b32_e32 v10, s3
	v_addc_co_u32_e32 v5, vcc, v5, v10, vcc
	v_mul_f64 v[0:1], v[0:1], s[0:1]
	v_mul_f64 v[6:7], v[6:7], s[0:1]
	v_cvt_f32_f64_e32 v0, v[0:1]
	v_cvt_f32_f64_e32 v1, v[6:7]
	global_store_dwordx2 v[4:5], v[0:1], off
	global_load_dwordx2 v[0:1], v[8:9], off offset:2688
	s_waitcnt vmcnt(0)
	v_mul_f32_e32 v6, v3, v1
	v_mul_f32_e32 v1, v2, v1
	v_fmac_f32_e32 v6, v2, v0
	v_fma_f32 v2, v0, v3, -v1
	v_cvt_f64_f32_e32 v[0:1], v6
	v_cvt_f64_f32_e32 v[2:3], v2
	v_mov_b32_e32 v6, s3
	v_mul_f64 v[0:1], v[0:1], s[0:1]
	v_mul_f64 v[2:3], v[2:3], s[0:1]
	v_cvt_f32_f64_e32 v0, v[0:1]
	v_cvt_f32_f64_e32 v1, v[2:3]
	v_add_co_u32_e32 v2, vcc, s2, v4
	v_addc_co_u32_e32 v3, vcc, v5, v6, vcc
	global_store_dwordx2 v[2:3], v[0:1], off
.LBB0_23:
	s_endpgm
	.section	.rodata,"a",@progbits
	.p2align	6, 0x0
	.amdhsa_kernel bluestein_single_fwd_len1989_dim1_sp_op_CI_CI
		.amdhsa_group_segment_fixed_size 15912
		.amdhsa_private_segment_fixed_size 224
		.amdhsa_kernarg_size 104
		.amdhsa_user_sgpr_count 6
		.amdhsa_user_sgpr_private_segment_buffer 1
		.amdhsa_user_sgpr_dispatch_ptr 0
		.amdhsa_user_sgpr_queue_ptr 0
		.amdhsa_user_sgpr_kernarg_segment_ptr 1
		.amdhsa_user_sgpr_dispatch_id 0
		.amdhsa_user_sgpr_flat_scratch_init 0
		.amdhsa_user_sgpr_private_segment_size 0
		.amdhsa_uses_dynamic_stack 0
		.amdhsa_system_sgpr_private_segment_wavefront_offset 1
		.amdhsa_system_sgpr_workgroup_id_x 1
		.amdhsa_system_sgpr_workgroup_id_y 0
		.amdhsa_system_sgpr_workgroup_id_z 0
		.amdhsa_system_sgpr_workgroup_info 0
		.amdhsa_system_vgpr_workitem_id 0
		.amdhsa_next_free_vgpr 256
		.amdhsa_next_free_sgpr 28
		.amdhsa_reserve_vcc 1
		.amdhsa_reserve_flat_scratch 0
		.amdhsa_float_round_mode_32 0
		.amdhsa_float_round_mode_16_64 0
		.amdhsa_float_denorm_mode_32 3
		.amdhsa_float_denorm_mode_16_64 3
		.amdhsa_dx10_clamp 1
		.amdhsa_ieee_mode 1
		.amdhsa_fp16_overflow 0
		.amdhsa_exception_fp_ieee_invalid_op 0
		.amdhsa_exception_fp_denorm_src 0
		.amdhsa_exception_fp_ieee_div_zero 0
		.amdhsa_exception_fp_ieee_overflow 0
		.amdhsa_exception_fp_ieee_underflow 0
		.amdhsa_exception_fp_ieee_inexact 0
		.amdhsa_exception_int_div_zero 0
	.end_amdhsa_kernel
	.text
.Lfunc_end0:
	.size	bluestein_single_fwd_len1989_dim1_sp_op_CI_CI, .Lfunc_end0-bluestein_single_fwd_len1989_dim1_sp_op_CI_CI
                                        ; -- End function
	.section	.AMDGPU.csdata,"",@progbits
; Kernel info:
; codeLenInByte = 25944
; NumSgprs: 32
; NumVgprs: 256
; ScratchSize: 224
; MemoryBound: 0
; FloatMode: 240
; IeeeMode: 1
; LDSByteSize: 15912 bytes/workgroup (compile time only)
; SGPRBlocks: 3
; VGPRBlocks: 63
; NumSGPRsForWavesPerEU: 32
; NumVGPRsForWavesPerEU: 256
; Occupancy: 1
; WaveLimiterHint : 1
; COMPUTE_PGM_RSRC2:SCRATCH_EN: 1
; COMPUTE_PGM_RSRC2:USER_SGPR: 6
; COMPUTE_PGM_RSRC2:TRAP_HANDLER: 0
; COMPUTE_PGM_RSRC2:TGID_X_EN: 1
; COMPUTE_PGM_RSRC2:TGID_Y_EN: 0
; COMPUTE_PGM_RSRC2:TGID_Z_EN: 0
; COMPUTE_PGM_RSRC2:TIDIG_COMP_CNT: 0
	.type	__hip_cuid_49cf6f31799b9577,@object ; @__hip_cuid_49cf6f31799b9577
	.section	.bss,"aw",@nobits
	.globl	__hip_cuid_49cf6f31799b9577
__hip_cuid_49cf6f31799b9577:
	.byte	0                               ; 0x0
	.size	__hip_cuid_49cf6f31799b9577, 1

	.ident	"AMD clang version 19.0.0git (https://github.com/RadeonOpenCompute/llvm-project roc-6.4.0 25133 c7fe45cf4b819c5991fe208aaa96edf142730f1d)"
	.section	".note.GNU-stack","",@progbits
	.addrsig
	.addrsig_sym __hip_cuid_49cf6f31799b9577
	.amdgpu_metadata
---
amdhsa.kernels:
  - .args:
      - .actual_access:  read_only
        .address_space:  global
        .offset:         0
        .size:           8
        .value_kind:     global_buffer
      - .actual_access:  read_only
        .address_space:  global
        .offset:         8
        .size:           8
        .value_kind:     global_buffer
      - .actual_access:  read_only
        .address_space:  global
        .offset:         16
        .size:           8
        .value_kind:     global_buffer
      - .actual_access:  read_only
        .address_space:  global
        .offset:         24
        .size:           8
        .value_kind:     global_buffer
      - .actual_access:  read_only
        .address_space:  global
        .offset:         32
        .size:           8
        .value_kind:     global_buffer
      - .offset:         40
        .size:           8
        .value_kind:     by_value
      - .address_space:  global
        .offset:         48
        .size:           8
        .value_kind:     global_buffer
      - .address_space:  global
        .offset:         56
        .size:           8
        .value_kind:     global_buffer
      - .address_space:  global
        .offset:         64
        .size:           8
        .value_kind:     global_buffer
      - .address_space:  global
        .offset:         72
        .size:           8
        .value_kind:     global_buffer
      - .offset:         80
        .size:           4
        .value_kind:     by_value
      - .address_space:  global
        .offset:         88
        .size:           8
        .value_kind:     global_buffer
      - .address_space:  global
        .offset:         96
        .size:           8
        .value_kind:     global_buffer
    .group_segment_fixed_size: 15912
    .kernarg_segment_align: 8
    .kernarg_segment_size: 104
    .language:       OpenCL C
    .language_version:
      - 2
      - 0
    .max_flat_workgroup_size: 153
    .name:           bluestein_single_fwd_len1989_dim1_sp_op_CI_CI
    .private_segment_fixed_size: 224
    .sgpr_count:     32
    .sgpr_spill_count: 0
    .symbol:         bluestein_single_fwd_len1989_dim1_sp_op_CI_CI.kd
    .uniform_work_group_size: 1
    .uses_dynamic_stack: false
    .vgpr_count:     256
    .vgpr_spill_count: 55
    .wavefront_size: 64
amdhsa.target:   amdgcn-amd-amdhsa--gfx906
amdhsa.version:
  - 1
  - 2
...

	.end_amdgpu_metadata
